;; amdgpu-corpus repo=ROCm/rocFFT kind=compiled arch=gfx1100 opt=O3
	.text
	.amdgcn_target "amdgcn-amd-amdhsa--gfx1100"
	.amdhsa_code_object_version 6
	.protected	bluestein_single_back_len1360_dim1_dp_op_CI_CI ; -- Begin function bluestein_single_back_len1360_dim1_dp_op_CI_CI
	.globl	bluestein_single_back_len1360_dim1_dp_op_CI_CI
	.p2align	8
	.type	bluestein_single_back_len1360_dim1_dp_op_CI_CI,@function
bluestein_single_back_len1360_dim1_dp_op_CI_CI: ; @bluestein_single_back_len1360_dim1_dp_op_CI_CI
; %bb.0:
	s_load_b128 s[4:7], s[0:1], 0x28
	v_mul_u32_u24_e32 v1, 0x304, v0
	s_mov_b32 s2, exec_lo
	s_delay_alu instid0(VALU_DEP_1) | instskip(NEXT) | instid1(VALU_DEP_1)
	v_lshrrev_b32_e32 v1, 16, v1
	v_mad_u64_u32 v[229:230], null, s15, 3, v[1:2]
	v_mov_b32_e32 v230, 0
                                        ; kill: def $vgpr2 killed $sgpr0 killed $exec
	s_waitcnt lgkmcnt(0)
	s_delay_alu instid0(VALU_DEP_1)
	v_cmpx_gt_u64_e64 s[4:5], v[229:230]
	s_cbranch_execz .LBB0_23
; %bb.1:
	v_mul_hi_u32 v2, 0xaaaaaaab, v229
	v_mul_lo_u16 v1, 0x55, v1
	s_clause 0x1
	s_load_b64 s[12:13], s[0:1], 0x0
	s_load_b64 s[14:15], s[0:1], 0x38
	s_delay_alu instid0(VALU_DEP_1) | instskip(NEXT) | instid1(VALU_DEP_3)
	v_sub_nc_u16 v0, v0, v1
	v_lshrrev_b32_e32 v2, 1, v2
	s_delay_alu instid0(VALU_DEP_2) | instskip(SKIP_1) | instid1(VALU_DEP_3)
	v_and_b32_e32 v224, 0xffff, v0
	v_cmp_gt_u16_e32 vcc_lo, 0x50, v0
	v_lshl_add_u32 v2, v2, 1, v2
	s_delay_alu instid0(VALU_DEP_3) | instskip(SKIP_1) | instid1(VALU_DEP_3)
	v_or_b32_e32 v0, 0x280, v224
	v_lshlrev_b32_e32 v223, 4, v224
	v_sub_nc_u32_e32 v1, v229, v2
	scratch_store_b32 off, v0, off offset:276 ; 4-byte Folded Spill
	v_or_b32_e32 v0, 0x500, v224
	v_mul_u32_u24_e32 v204, 0x550, v1
	scratch_store_b32 off, v0, off offset:272 ; 4-byte Folded Spill
	v_lshlrev_b32_e32 v230, 4, v204
	s_and_saveexec_b32 s3, vcc_lo
	s_cbranch_execz .LBB0_3
; %bb.2:
	s_load_b64 s[4:5], s[0:1], 0x18
	v_or_b32_e32 v49, 0x500, v224
	s_waitcnt lgkmcnt(0)
	v_add_co_u32 v16, s2, s12, v223
	v_or_b32_e32 v48, 0x280, v224
	v_add_co_ci_u32_e64 v17, null, s13, 0, s2
	s_delay_alu instid0(VALU_DEP_3) | instskip(NEXT) | instid1(VALU_DEP_1)
	v_add_co_u32 v34, s2, 0x1000, v16
	v_add_co_ci_u32_e64 v35, s2, 0, v17, s2
	v_add_co_u32 v42, s2, 0x2000, v16
	s_delay_alu instid0(VALU_DEP_1) | instskip(SKIP_1) | instid1(VALU_DEP_1)
	v_add_co_ci_u32_e64 v43, s2, 0, v17, s2
	v_add_co_u32 v54, s2, 0x3000, v16
	v_add_co_ci_u32_e64 v55, s2, 0, v17, s2
	s_load_b128 s[8:11], s[4:5], 0x0
	v_add_co_u32 v16, s2, 0x4000, v16
	s_delay_alu instid0(VALU_DEP_1)
	v_add_co_ci_u32_e64 v17, s2, 0, v17, s2
	s_clause 0x3
	global_load_b128 v[0:3], v223, s[12:13]
	global_load_b128 v[4:7], v223, s[12:13] offset:1280
	global_load_b128 v[8:11], v223, s[12:13] offset:2560
	;; [unrolled: 1-line block ×3, first 2 shown]
	s_waitcnt lgkmcnt(0)
	v_mad_u64_u32 v[38:39], null, s10, v229, 0
	v_mad_u64_u32 v[40:41], null, s8, v224, 0
	v_lshlrev_b32_e32 v23, 4, v49
	s_mul_i32 s4, s9, 0x500
	s_mul_hi_u32 s5, s8, 0x500
	s_mul_i32 s10, s8, 0x500
	s_delay_alu instid0(VALU_DEP_3) | instskip(SKIP_1) | instid1(VALU_DEP_3)
	v_mov_b32_e32 v22, v39
	s_add_i32 s5, s5, s4
	v_mov_b32_e32 v26, v41
	s_delay_alu instid0(VALU_DEP_2) | instskip(NEXT) | instid1(VALU_DEP_2)
	v_mad_u64_u32 v[44:45], null, s11, v229, v[22:23]
	v_mad_u64_u32 v[45:46], null, s9, v224, v[26:27]
	v_lshlrev_b32_e32 v18, 4, v48
	v_mad_u64_u32 v[46:47], null, s8, v49, 0
	global_load_b128 v[22:25], v23, s[12:13]
	v_mov_b32_e32 v39, v44
	global_load_b128 v[18:21], v18, s[12:13]
	v_mov_b32_e32 v41, v45
	v_mad_u64_u32 v[44:45], null, s8, v48, 0
	v_lshlrev_b64 v[38:39], 4, v[38:39]
	s_clause 0x2
	global_load_b128 v[26:29], v[34:35], off offset:1024
	global_load_b128 v[30:33], v[34:35], off offset:2304
	;; [unrolled: 1-line block ×3, first 2 shown]
	v_lshlrev_b64 v[40:41], 4, v[40:41]
	v_add_co_u32 v50, s2, s6, v38
	s_delay_alu instid0(VALU_DEP_1) | instskip(SKIP_1) | instid1(VALU_DEP_3)
	v_add_co_ci_u32_e64 v51, s2, s7, v39, s2
	v_mov_b32_e32 v38, v45
	v_add_co_u32 v66, s2, v50, v40
	s_delay_alu instid0(VALU_DEP_1) | instskip(SKIP_1) | instid1(VALU_DEP_3)
	v_add_co_ci_u32_e64 v67, s2, v51, v41, s2
	v_mov_b32_e32 v39, v47
	v_add_co_u32 v70, s2, v66, s10
	s_delay_alu instid0(VALU_DEP_1) | instskip(NEXT) | instid1(VALU_DEP_3)
	v_add_co_ci_u32_e64 v71, s2, s5, v67, s2
	v_mad_u64_u32 v[40:41], null, s9, v48, v[38:39]
	s_delay_alu instid0(VALU_DEP_3) | instskip(NEXT) | instid1(VALU_DEP_1)
	v_add_co_u32 v74, s2, v70, s10
	v_add_co_ci_u32_e64 v75, s2, s5, v71, s2
	s_delay_alu instid0(VALU_DEP_2) | instskip(NEXT) | instid1(VALU_DEP_4)
	v_add_co_u32 v78, s2, v74, s10
	v_mov_b32_e32 v45, v40
	s_delay_alu instid0(VALU_DEP_3) | instskip(NEXT) | instid1(VALU_DEP_3)
	v_add_co_ci_u32_e64 v79, s2, s5, v75, s2
	v_add_co_u32 v82, s2, v78, s10
	v_mad_u64_u32 v[47:48], null, s9, v49, v[39:40]
	s_delay_alu instid0(VALU_DEP_3) | instskip(NEXT) | instid1(VALU_DEP_3)
	v_add_co_ci_u32_e64 v83, s2, s5, v79, s2
	v_add_co_u32 v86, s2, v82, s10
	v_lshlrev_b64 v[48:49], 4, v[44:45]
	s_delay_alu instid0(VALU_DEP_3) | instskip(NEXT) | instid1(VALU_DEP_3)
	v_add_co_ci_u32_e64 v87, s2, s5, v83, s2
	v_add_co_u32 v90, s2, v86, s10
	v_lshlrev_b64 v[46:47], 4, v[46:47]
	s_delay_alu instid0(VALU_DEP_3) | instskip(NEXT) | instid1(VALU_DEP_3)
	v_add_co_ci_u32_e64 v91, s2, s5, v87, s2
	v_add_co_u32 v94, s2, v90, s10
	s_clause 0x1
	global_load_b128 v[38:41], v[42:43], off offset:768
	global_load_b128 v[42:45], v[42:43], off offset:3328
	v_add_co_ci_u32_e64 v95, s2, s5, v91, s2
	v_add_co_u32 v58, s2, v50, v48
	s_delay_alu instid0(VALU_DEP_1) | instskip(NEXT) | instid1(VALU_DEP_3)
	v_add_co_ci_u32_e64 v59, s2, v51, v49, s2
	v_mad_u64_u32 v[98:99], null, 0xa00, s8, v[94:95]
	v_add_co_u32 v62, s2, v50, v46
	s_delay_alu instid0(VALU_DEP_1)
	v_add_co_ci_u32_e64 v63, s2, v51, v47, s2
	s_clause 0x2
	global_load_b128 v[46:49], v[54:55], off offset:512
	global_load_b128 v[50:53], v[54:55], off offset:1792
	;; [unrolled: 1-line block ×3, first 2 shown]
	s_clause 0x1
	global_load_b128 v[58:61], v[58:59], off
	global_load_b128 v[62:65], v[62:63], off
	v_mov_b32_e32 v68, v99
	v_add_co_u32 v102, s2, v98, s10
	s_delay_alu instid0(VALU_DEP_2)
	v_mad_u64_u32 v[96:97], null, 0xa00, s9, v[68:69]
	s_clause 0x4
	global_load_b128 v[66:69], v[66:67], off
	global_load_b128 v[70:73], v[70:71], off
	;; [unrolled: 1-line block ×7, first 2 shown]
	v_mov_b32_e32 v99, v96
	global_load_b128 v[94:97], v[94:95], off
	v_add_co_ci_u32_e64 v103, s2, s5, v99, s2
	v_add_co_u32 v106, s2, v102, s10
	global_load_b128 v[98:101], v[98:99], off
	v_add_co_ci_u32_e64 v107, s2, s5, v103, s2
	v_add_co_u32 v110, s2, v106, s10
	;; [unrolled: 3-line block ×5, first 2 shown]
	global_load_b128 v[114:117], v[114:115], off
	v_add_co_ci_u32_e64 v135, s2, s5, v127, s2
	s_clause 0x1
	global_load_b128 v[118:121], v[16:17], off offset:256
	global_load_b128 v[122:125], v[16:17], off offset:1536
	global_load_b128 v[126:129], v[126:127], off
	global_load_b128 v[130:133], v[16:17], off offset:2816
	global_load_b128 v[134:137], v[134:135], off
	s_waitcnt vmcnt(19)
	v_mul_f64 v[138:139], v[60:61], v[20:21]
	v_mul_f64 v[20:21], v[58:59], v[20:21]
	s_waitcnt vmcnt(18)
	v_mul_f64 v[140:141], v[64:65], v[24:25]
	s_waitcnt vmcnt(17)
	v_mul_f64 v[16:17], v[68:69], v[2:3]
	v_mul_f64 v[2:3], v[66:67], v[2:3]
	s_waitcnt vmcnt(16)
	v_mul_f64 v[142:143], v[72:73], v[6:7]
	;; [unrolled: 3-line block ×8, first 2 shown]
	v_mul_f64 v[40:41], v[94:95], v[40:41]
	v_mul_f64 v[176:177], v[62:63], v[24:25]
	s_waitcnt vmcnt(9)
	v_mul_f64 v[160:161], v[100:101], v[44:45]
	v_mul_f64 v[44:45], v[98:99], v[44:45]
	s_waitcnt vmcnt(8)
	;; [unrolled: 3-line block ×4, first 2 shown]
	v_mul_f64 v[166:167], v[112:113], v[56:57]
	v_mul_f64 v[168:169], v[110:111], v[56:57]
	v_fma_f64 v[14:15], v[66:67], v[0:1], v[16:17]
	v_fma_f64 v[16:17], v[68:69], v[0:1], -v[2:3]
	v_fma_f64 v[0:1], v[58:59], v[18:19], v[138:139]
	s_waitcnt vmcnt(4)
	v_mul_f64 v[170:171], v[116:117], v[120:121]
	v_mul_f64 v[120:121], v[114:115], v[120:121]
	s_waitcnt vmcnt(2)
	v_mul_f64 v[172:173], v[128:129], v[124:125]
	v_mul_f64 v[124:125], v[126:127], v[124:125]
	;; [unrolled: 3-line block ×3, first 2 shown]
	v_fma_f64 v[2:3], v[60:61], v[18:19], -v[20:21]
	v_fma_f64 v[18:19], v[70:71], v[4:5], v[142:143]
	v_fma_f64 v[20:21], v[72:73], v[4:5], -v[144:145]
	v_fma_f64 v[56:57], v[74:75], v[8:9], v[146:147]
	;; [unrolled: 2-line block ×10, first 2 shown]
	v_fma_f64 v[8:9], v[64:65], v[22:23], -v[176:177]
	v_lshl_add_u32 v4, v224, 4, v230
	v_fma_f64 v[48:49], v[106:107], v[50:51], v[164:165]
	v_fma_f64 v[50:51], v[108:109], v[50:51], -v[52:53]
	v_add_nc_u32_e32 v5, v230, v223
	v_fma_f64 v[52:53], v[110:111], v[54:55], v[166:167]
	v_fma_f64 v[54:55], v[112:113], v[54:55], -v[168:169]
	v_fma_f64 v[60:61], v[114:115], v[118:119], v[170:171]
	v_fma_f64 v[62:63], v[116:117], v[118:119], -v[120:121]
	;; [unrolled: 2-line block ×4, first 2 shown]
	ds_store_b128 v4, v[14:17]
	ds_store_b128 v5, v[18:21] offset:1280
	ds_store_b128 v5, v[56:59] offset:2560
	;; [unrolled: 1-line block ×16, first 2 shown]
.LBB0_3:
	s_or_b32 exec_lo, exec_lo, s3
	s_waitcnt lgkmcnt(0)
	s_waitcnt_vscnt null, 0x0
	s_barrier
	buffer_gl0_inv
                                        ; implicit-def: $vgpr0_vgpr1
                                        ; implicit-def: $vgpr48_vgpr49
                                        ; implicit-def: $vgpr64_vgpr65
                                        ; implicit-def: $vgpr12_vgpr13
                                        ; implicit-def: $vgpr8_vgpr9
                                        ; implicit-def: $vgpr16_vgpr17
                                        ; implicit-def: $vgpr20_vgpr21
                                        ; implicit-def: $vgpr24_vgpr25
                                        ; implicit-def: $vgpr28_vgpr29
                                        ; implicit-def: $vgpr56_vgpr57
                                        ; implicit-def: $vgpr72_vgpr73
                                        ; implicit-def: $vgpr68_vgpr69
                                        ; implicit-def: $vgpr60_vgpr61
                                        ; implicit-def: $vgpr52_vgpr53
                                        ; implicit-def: $vgpr44_vgpr45
                                        ; implicit-def: $vgpr40_vgpr41
                                        ; implicit-def: $vgpr32_vgpr33
	s_and_saveexec_b32 s2, vcc_lo
	s_cbranch_execz .LBB0_5
; %bb.4:
	v_lshl_add_u32 v4, v204, 4, v223
	ds_load_b128 v[0:3], v4
	ds_load_b128 v[32:35], v4 offset:1280
	ds_load_b128 v[40:43], v4 offset:2560
	ds_load_b128 v[44:47], v4 offset:3840
	ds_load_b128 v[52:55], v4 offset:5120
	ds_load_b128 v[60:63], v4 offset:6400
	ds_load_b128 v[48:51], v4 offset:7680
	ds_load_b128 v[68:71], v4 offset:8960
	ds_load_b128 v[72:75], v4 offset:10240
	ds_load_b128 v[64:67], v4 offset:11520
	ds_load_b128 v[56:59], v4 offset:12800
	ds_load_b128 v[28:31], v4 offset:14080
	ds_load_b128 v[24:27], v4 offset:15360
	ds_load_b128 v[20:23], v4 offset:16640
	ds_load_b128 v[16:19], v4 offset:17920
	ds_load_b128 v[12:15], v4 offset:19200
	ds_load_b128 v[8:11], v4 offset:20480
.LBB0_5:
	s_or_b32 exec_lo, exec_lo, s2
	s_waitcnt lgkmcnt(0)
	v_add_f64 v[162:163], v[34:35], -v[10:11]
	v_add_f64 v[168:169], v[32:33], -v[8:9]
	s_mov_b32 s6, 0x5d8e7cdc
	s_mov_b32 s10, 0x2a9d6da3
	s_mov_b32 s7, 0xbfd71e95
	s_mov_b32 s11, 0xbfe58eea
	v_add_f64 v[160:161], v[8:9], v[32:33]
	v_add_f64 v[166:167], v[10:11], v[34:35]
	v_add_f64 v[90:91], v[42:43], -v[14:15]
	v_add_f64 v[76:77], v[40:41], -v[12:13]
	s_mov_b32 s8, 0x370991
	s_mov_b32 s16, 0x75d4884
	s_mov_b32 s22, 0xeb564b22
	s_mov_b32 s9, 0x3fedd6d0
	s_mov_b32 s17, 0x3fe7a5f6
	s_mov_b32 s23, 0xbfefdd0d
	v_add_f64 v[78:79], v[12:13], v[40:41]
	v_add_f64 v[94:95], v[14:15], v[42:43]
	v_add_f64 v[96:97], v[46:47], -v[18:19]
	v_add_f64 v[80:81], v[44:45], -v[16:17]
	s_mov_b32 s18, 0x3259b75e
	s_mov_b32 s28, 0x7c9e640b
	;; [unrolled: 10-line block ×3, first 2 shown]
	s_mov_b32 s26, 0xacd6c6b4
	s_mov_b32 s31, 0x3fdc86fa
	;; [unrolled: 1-line block ×4, first 2 shown]
	v_add_f64 v[86:87], v[20:21], v[52:53]
	v_add_f64 v[110:111], v[22:23], v[54:55]
	v_mul_f64 v[176:177], v[162:163], s[6:7]
	v_mul_f64 v[184:185], v[168:169], s[6:7]
	;; [unrolled: 1-line block ×4, first 2 shown]
	v_add_f64 v[88:89], v[60:61], -v[24:25]
	v_add_f64 v[114:115], v[62:63], -v[26:27]
	s_mov_b32 s34, 0x7faef3
	s_mov_b32 s36, 0x923c349f
	v_mul_f64 v[136:137], v[90:91], s[10:11]
	v_mul_f64 v[138:139], v[76:77], s[10:11]
	;; [unrolled: 1-line block ×4, first 2 shown]
	s_mov_b32 s38, 0x4363dd80
	s_mov_b32 s35, 0xbfef7484
	;; [unrolled: 1-line block ×4, first 2 shown]
	v_add_f64 v[118:119], v[26:27], v[62:63]
	v_add_f64 v[120:121], v[50:51], -v[30:31]
	v_mul_f64 v[144:145], v[96:97], s[28:29]
	v_mul_f64 v[148:149], v[80:81], s[28:29]
	;; [unrolled: 1-line block ×4, first 2 shown]
	s_mov_b32 s42, 0xc61f0d01
	s_mov_b32 s40, 0x910ea3b9
	;; [unrolled: 1-line block ×6, first 2 shown]
	v_mul_f64 v[158:159], v[84:85], s[22:23]
	v_mul_f64 v[152:153], v[106:107], s[22:23]
	;; [unrolled: 1-line block ×4, first 2 shown]
	v_add_f64 v[124:125], v[70:71], -v[58:59]
	s_mov_b32 s49, 0xbfe0d888
	s_mov_b32 s45, 0x3feca52d
	;; [unrolled: 1-line block ×5, first 2 shown]
	v_fma_f64 v[4:5], v[160:161], s[8:9], v[176:177]
	v_fma_f64 v[6:7], v[166:167], s[8:9], -v[184:185]
	v_fma_f64 v[36:37], v[160:161], s[16:17], v[186:187]
	v_fma_f64 v[38:39], v[166:167], s[16:17], -v[192:193]
	v_mul_f64 v[174:175], v[88:89], s[36:37]
	v_mul_f64 v[172:173], v[114:115], s[36:37]
	;; [unrolled: 1-line block ×4, first 2 shown]
	v_fma_f64 v[92:93], v[78:79], s[16:17], v[136:137]
	v_fma_f64 v[98:99], v[94:95], s[16:17], -v[138:139]
	v_fma_f64 v[102:103], v[78:79], s[18:19], v[126:127]
	v_fma_f64 v[104:105], v[94:95], s[18:19], -v[130:131]
	s_mov_b32 s46, s6
	s_clause 0x1
	s_load_b64 s[4:5], s[0:1], 0x20
	s_load_b64 s[2:3], s[0:1], 0x8
	s_waitcnt lgkmcnt(0)
	s_barrier
	buffer_gl0_inv
	v_mul_f64 v[182:183], v[120:121], s[20:21]
	v_fma_f64 v[108:109], v[82:83], s[30:31], v[144:145]
	v_fma_f64 v[112:113], v[100:101], s[30:31], -v[148:149]
	v_fma_f64 v[116:117], v[82:83], s[24:25], v[140:141]
	v_fma_f64 v[122:123], v[100:101], s[24:25], -v[142:143]
	v_mul_f64 v[164:165], v[120:121], s[50:51]
	v_fma_f64 v[132:133], v[110:111], s[18:19], -v[158:159]
	v_fma_f64 v[128:129], v[86:87], s[18:19], v[152:153]
	v_fma_f64 v[134:135], v[86:87], s[34:35], v[146:147]
	v_fma_f64 v[178:179], v[110:111], s[34:35], -v[150:151]
	v_mul_f64 v[196:197], v[124:125], s[48:49]
	v_add_f64 v[4:5], v[0:1], v[4:5]
	v_add_f64 v[6:7], v[2:3], v[6:7]
	;; [unrolled: 1-line block ×4, first 2 shown]
	v_fma_f64 v[190:191], v[118:119], s[42:43], -v[174:175]
	v_fma_f64 v[200:201], v[118:119], s[40:41], -v[156:157]
	v_add_f64 v[4:5], v[92:93], v[4:5]
	v_add_f64 v[6:7], v[98:99], v[6:7]
	;; [unrolled: 1-line block ×5, first 2 shown]
	v_add_f64 v[98:99], v[48:49], -v[28:29]
	v_add_f64 v[102:103], v[48:49], v[28:29]
	v_add_f64 v[104:105], v[68:69], -v[56:57]
	v_add_f64 v[4:5], v[108:109], v[4:5]
	v_add_f64 v[6:7], v[112:113], v[6:7]
	;; [unrolled: 1-line block ×5, first 2 shown]
	v_mul_f64 v[188:189], v[98:99], s[20:21]
	v_mul_f64 v[170:171], v[98:99], s[50:51]
	v_fma_f64 v[116:117], v[92:93], s[42:43], v[172:173]
	v_fma_f64 v[194:195], v[92:93], s[40:41], v[154:155]
	v_add_f64 v[108:109], v[56:57], v[68:69]
	v_add_f64 v[112:113], v[72:73], -v[64:65]
	v_mul_f64 v[198:199], v[104:105], s[48:49]
	v_mul_f64 v[180:181], v[104:105], s[44:45]
	v_fma_f64 v[205:206], v[102:103], s[24:25], v[182:183]
	v_fma_f64 v[209:210], v[102:103], s[42:43], v[164:165]
	v_add_f64 v[4:5], v[128:129], v[4:5]
	v_add_f64 v[6:7], v[132:133], v[6:7]
	;; [unrolled: 1-line block ×5, first 2 shown]
	v_add_f64 v[132:133], v[74:75], -v[66:67]
	v_mul_f64 v[178:179], v[124:125], s[44:45]
	v_fma_f64 v[207:208], v[122:123], s[24:25], -v[188:189]
	v_fma_f64 v[211:212], v[122:123], s[42:43], -v[170:171]
	v_add_f64 v[134:135], v[66:67], v[74:75]
	v_mul_f64 v[202:203], v[112:113], s[26:27]
	v_fma_f64 v[213:214], v[108:109], s[40:41], v[196:197]
	v_add_f64 v[4:5], v[116:117], v[4:5]
	v_add_f64 v[6:7], v[190:191], v[6:7]
	;; [unrolled: 1-line block ×5, first 2 shown]
	v_mul_f64 v[200:201], v[132:133], s[26:27]
	v_mul_f64 v[190:191], v[132:133], s[46:47]
	;; [unrolled: 1-line block ×3, first 2 shown]
	v_fma_f64 v[215:216], v[128:129], s[40:41], -v[198:199]
	v_fma_f64 v[217:218], v[108:109], s[30:31], v[178:179]
	v_fma_f64 v[219:220], v[128:129], s[30:31], -v[180:181]
	v_add_f64 v[4:5], v[205:206], v[4:5]
	v_add_f64 v[6:7], v[207:208], v[6:7]
	;; [unrolled: 1-line block ×4, first 2 shown]
	v_fma_f64 v[207:208], v[134:135], s[34:35], -v[202:203]
	v_fma_f64 v[205:206], v[116:117], s[34:35], v[200:201]
	v_fma_f64 v[209:210], v[116:117], s[8:9], v[190:191]
	v_fma_f64 v[211:212], v[134:135], s[8:9], -v[194:195]
	v_add_f64 v[4:5], v[213:214], v[4:5]
	v_add_f64 v[6:7], v[215:216], v[6:7]
	;; [unrolled: 1-line block ×4, first 2 shown]
	s_delay_alu instid0(VALU_DEP_4) | instskip(NEXT) | instid1(VALU_DEP_4)
	v_add_f64 v[4:5], v[205:206], v[4:5]
	v_add_f64 v[6:7], v[207:208], v[6:7]
	s_delay_alu instid0(VALU_DEP_4) | instskip(NEXT) | instid1(VALU_DEP_4)
	v_add_f64 v[36:37], v[209:210], v[36:37]
	v_add_f64 v[38:39], v[211:212], v[38:39]
	s_and_saveexec_b32 s33, vcc_lo
	s_cbranch_execz .LBB0_7
; %bb.6:
	v_add_f64 v[32:33], v[0:1], v[32:33]
	v_add_f64 v[34:35], v[2:3], v[34:35]
	s_mov_b32 s53, 0x3fe9895b
	s_mov_b32 s52, s20
	;; [unrolled: 1-line block ×8, first 2 shown]
	v_mul_f64 v[207:208], v[134:135], s[18:19]
	v_mul_f64 v[209:210], v[132:133], s[0:1]
	;; [unrolled: 1-line block ×4, first 2 shown]
	v_add_f64 v[32:33], v[40:41], v[32:33]
	v_add_f64 v[34:35], v[42:43], v[34:35]
	v_mul_f64 v[42:43], v[160:161], s[16:17]
	v_mul_f64 v[40:41], v[166:167], s[16:17]
	s_delay_alu instid0(VALU_DEP_4) | instskip(NEXT) | instid1(VALU_DEP_4)
	v_add_f64 v[32:33], v[44:45], v[32:33]
	v_add_f64 v[34:35], v[46:47], v[34:35]
	v_mul_f64 v[46:47], v[162:163], s[26:27]
	v_add_f64 v[42:43], v[42:43], -v[186:187]
	v_mul_f64 v[44:45], v[166:167], s[8:9]
	v_add_f64 v[40:41], v[192:193], v[40:41]
	v_add_f64 v[32:33], v[52:53], v[32:33]
	;; [unrolled: 1-line block ×3, first 2 shown]
	v_mul_f64 v[52:53], v[162:163], s[36:37]
	v_mul_f64 v[54:55], v[162:163], s[22:23]
	v_add_f64 v[44:45], v[184:185], v[44:45]
	v_add_f64 v[32:33], v[60:61], v[32:33]
	;; [unrolled: 1-line block ×3, first 2 shown]
	s_delay_alu instid0(VALU_DEP_2) | instskip(NEXT) | instid1(VALU_DEP_2)
	v_add_f64 v[32:33], v[48:49], v[32:33]
	v_add_f64 v[34:35], v[50:51], v[34:35]
	v_mul_f64 v[48:49], v[162:163], s[48:49]
	v_mul_f64 v[50:51], v[162:163], s[20:21]
	s_delay_alu instid0(VALU_DEP_4) | instskip(NEXT) | instid1(VALU_DEP_4)
	v_add_f64 v[32:33], v[68:69], v[32:33]
	v_add_f64 v[34:35], v[70:71], v[34:35]
	v_mul_f64 v[70:71], v[160:161], s[8:9]
	v_fma_f64 v[60:61], v[160:161], s[40:41], v[48:49]
	v_fma_f64 v[48:49], v[160:161], s[40:41], -v[48:49]
	v_fma_f64 v[62:63], v[160:161], s[24:25], v[50:51]
	v_fma_f64 v[50:51], v[160:161], s[24:25], -v[50:51]
	v_add_f64 v[32:33], v[72:73], v[32:33]
	v_add_f64 v[34:35], v[74:75], v[34:35]
	v_add_f64 v[70:71], v[70:71], -v[176:177]
	v_add_f64 v[60:61], v[0:1], v[60:61]
	v_add_f64 v[48:49], v[0:1], v[48:49]
	;; [unrolled: 1-line block ×6, first 2 shown]
	v_fma_f64 v[64:65], v[160:161], s[42:43], v[52:53]
	v_fma_f64 v[52:53], v[160:161], s[42:43], -v[52:53]
	v_fma_f64 v[66:67], v[160:161], s[18:19], v[54:55]
	v_fma_f64 v[54:55], v[160:161], s[18:19], -v[54:55]
	v_add_f64 v[32:33], v[56:57], v[32:33]
	v_add_f64 v[34:35], v[58:59], v[34:35]
	v_mul_f64 v[56:57], v[162:163], s[28:29]
	v_fma_f64 v[58:59], v[160:161], s[34:35], v[46:47]
	v_fma_f64 v[46:47], v[160:161], s[34:35], -v[46:47]
	v_add_f64 v[64:65], v[0:1], v[64:65]
	v_add_f64 v[52:53], v[0:1], v[52:53]
	;; [unrolled: 1-line block ×6, first 2 shown]
	v_mul_f64 v[32:33], v[166:167], s[30:31]
	v_fma_f64 v[68:69], v[160:161], s[30:31], v[56:57]
	v_fma_f64 v[56:57], v[160:161], s[30:31], -v[56:57]
	v_add_f64 v[58:59], v[0:1], v[58:59]
	v_add_f64 v[46:47], v[0:1], v[46:47]
	;; [unrolled: 1-line block ×4, first 2 shown]
	v_mul_f64 v[28:29], v[166:167], s[18:19]
	v_fma_f64 v[34:35], v[168:169], s[44:45], v[32:33]
	v_fma_f64 v[32:33], v[168:169], s[28:29], v[32:33]
	v_add_f64 v[68:69], v[0:1], v[68:69]
	v_add_f64 v[20:21], v[20:21], v[24:25]
	;; [unrolled: 1-line block ×3, first 2 shown]
	v_mul_f64 v[24:25], v[166:167], s[42:43]
	v_fma_f64 v[30:31], v[168:169], s[0:1], v[28:29]
	v_fma_f64 v[28:29], v[168:169], s[22:23], v[28:29]
	v_add_f64 v[184:185], v[2:3], v[34:35]
	v_add_f64 v[34:35], v[0:1], v[56:57]
	;; [unrolled: 1-line block ×5, first 2 shown]
	v_mul_f64 v[20:21], v[166:167], s[24:25]
	v_fma_f64 v[26:27], v[168:169], s[50:51], v[24:25]
	v_fma_f64 v[24:25], v[168:169], s[36:37], v[24:25]
	v_add_f64 v[176:177], v[2:3], v[28:29]
	v_add_f64 v[28:29], v[2:3], v[40:41]
	;; [unrolled: 1-line block ×3, first 2 shown]
	v_mul_f64 v[16:17], v[166:167], s[40:41]
	v_add_f64 v[14:15], v[14:15], v[18:19]
	v_fma_f64 v[22:23], v[168:169], s[52:53], v[20:21]
	v_fma_f64 v[20:21], v[168:169], s[20:21], v[20:21]
	v_add_f64 v[162:163], v[2:3], v[26:27]
	v_add_f64 v[26:27], v[0:1], v[70:71]
	;; [unrolled: 1-line block ×3, first 2 shown]
	v_mul_f64 v[12:13], v[166:167], s[34:35]
	v_fma_f64 v[18:19], v[168:169], s[38:39], v[16:17]
	v_fma_f64 v[16:17], v[168:169], s[48:49], v[16:17]
	v_add_f64 v[10:11], v[10:11], v[14:15]
	v_add_f64 v[160:161], v[2:3], v[20:21]
	v_mul_f64 v[20:21], v[100:101], s[40:41]
	v_add_f64 v[74:75], v[2:3], v[22:23]
	v_add_f64 v[166:167], v[2:3], v[24:25]
	;; [unrolled: 1-line block ×3, first 2 shown]
	v_fma_f64 v[14:15], v[168:169], s[54:55], v[12:13]
	v_fma_f64 v[12:13], v[168:169], s[26:27], v[12:13]
	v_add_f64 v[72:73], v[2:3], v[16:17]
	v_mul_f64 v[16:17], v[94:95], s[8:9]
	v_add_f64 v[168:169], v[2:3], v[30:31]
	v_add_f64 v[30:31], v[0:1], v[42:43]
	v_fma_f64 v[22:23], v[80:81], s[38:39], v[20:21]
	v_add_f64 v[18:19], v[2:3], v[18:19]
	v_add_f64 v[14:15], v[2:3], v[14:15]
	;; [unrolled: 1-line block ×3, first 2 shown]
	v_fma_f64 v[0:1], v[76:77], s[6:7], v[16:17]
	v_fma_f64 v[16:17], v[76:77], s[46:47], v[16:17]
	s_delay_alu instid0(VALU_DEP_2) | instskip(SKIP_1) | instid1(VALU_DEP_3)
	v_add_f64 v[0:1], v[0:1], v[14:15]
	v_mul_f64 v[14:15], v[90:91], s[46:47]
	v_add_f64 v[12:13], v[16:17], v[12:13]
	v_fma_f64 v[16:17], v[80:81], s[48:49], v[20:21]
	v_fma_f64 v[20:21], v[116:117], s[18:19], -v[209:210]
	v_add_f64 v[0:1], v[22:23], v[0:1]
	v_fma_f64 v[2:3], v[78:79], s[8:9], v[14:15]
	v_mul_f64 v[22:23], v[96:97], s[48:49]
	v_fma_f64 v[14:15], v[78:79], s[8:9], -v[14:15]
	v_add_f64 v[12:13], v[16:17], v[12:13]
	s_delay_alu instid0(VALU_DEP_4) | instskip(NEXT) | instid1(VALU_DEP_4)
	v_add_f64 v[2:3], v[2:3], v[58:59]
	v_fma_f64 v[40:41], v[82:83], s[40:41], v[22:23]
	s_delay_alu instid0(VALU_DEP_4) | instskip(SKIP_2) | instid1(VALU_DEP_4)
	v_add_f64 v[14:15], v[14:15], v[46:47]
	v_fma_f64 v[16:17], v[82:83], s[40:41], -v[22:23]
	v_mul_f64 v[22:23], v[90:91], s[44:45]
	v_add_f64 v[2:3], v[40:41], v[2:3]
	v_mul_f64 v[40:41], v[110:111], s[16:17]
	s_delay_alu instid0(VALU_DEP_4) | instskip(NEXT) | instid1(VALU_DEP_2)
	v_add_f64 v[14:15], v[16:17], v[14:15]
	v_fma_f64 v[42:43], v[84:85], s[10:11], v[40:41]
	v_fma_f64 v[16:17], v[84:85], s[56:57], v[40:41]
	v_mul_f64 v[40:41], v[100:101], s[18:19]
	s_delay_alu instid0(VALU_DEP_3) | instskip(SKIP_1) | instid1(VALU_DEP_4)
	v_add_f64 v[0:1], v[42:43], v[0:1]
	v_mul_f64 v[42:43], v[106:107], s[56:57]
	v_add_f64 v[12:13], v[16:17], v[12:13]
	s_delay_alu instid0(VALU_DEP_2) | instskip(SKIP_3) | instid1(VALU_DEP_4)
	v_fma_f64 v[44:45], v[86:87], s[16:17], v[42:43]
	v_fma_f64 v[16:17], v[86:87], s[16:17], -v[42:43]
	v_fma_f64 v[42:43], v[80:81], s[0:1], v[40:41]
	v_fma_f64 v[40:41], v[80:81], s[22:23], v[40:41]
	v_add_f64 v[2:3], v[44:45], v[2:3]
	v_mul_f64 v[44:45], v[118:119], s[24:25]
	v_add_f64 v[14:15], v[16:17], v[14:15]
	s_delay_alu instid0(VALU_DEP_2) | instskip(SKIP_1) | instid1(VALU_DEP_2)
	v_fma_f64 v[56:57], v[88:89], s[52:53], v[44:45]
	v_fma_f64 v[16:17], v[88:89], s[20:21], v[44:45]
	v_add_f64 v[0:1], v[56:57], v[0:1]
	v_mul_f64 v[56:57], v[114:115], s[20:21]
	s_delay_alu instid0(VALU_DEP_3) | instskip(NEXT) | instid1(VALU_DEP_2)
	v_add_f64 v[12:13], v[16:17], v[12:13]
	v_fma_f64 v[58:59], v[92:93], s[24:25], v[56:57]
	v_fma_f64 v[16:17], v[92:93], s[24:25], -v[56:57]
	s_delay_alu instid0(VALU_DEP_2) | instskip(SKIP_1) | instid1(VALU_DEP_3)
	v_add_f64 v[2:3], v[58:59], v[2:3]
	v_mul_f64 v[58:59], v[122:123], s[30:31]
	v_add_f64 v[14:15], v[16:17], v[14:15]
	s_delay_alu instid0(VALU_DEP_2) | instskip(SKIP_1) | instid1(VALU_DEP_2)
	v_fma_f64 v[70:71], v[98:99], s[28:29], v[58:59]
	v_fma_f64 v[16:17], v[98:99], s[44:45], v[58:59]
	v_add_f64 v[0:1], v[70:71], v[0:1]
	v_mul_f64 v[70:71], v[120:121], s[44:45]
	s_delay_alu instid0(VALU_DEP_3) | instskip(NEXT) | instid1(VALU_DEP_2)
	v_add_f64 v[12:13], v[16:17], v[12:13]
	v_fma_f64 v[186:187], v[102:103], s[30:31], v[70:71]
	v_fma_f64 v[16:17], v[102:103], s[30:31], -v[70:71]
	s_delay_alu instid0(VALU_DEP_2) | instskip(SKIP_1) | instid1(VALU_DEP_3)
	v_add_f64 v[2:3], v[186:187], v[2:3]
	v_mul_f64 v[186:187], v[128:129], s[42:43]
	v_add_f64 v[14:15], v[16:17], v[14:15]
	s_delay_alu instid0(VALU_DEP_2) | instskip(SKIP_1) | instid1(VALU_DEP_2)
	v_fma_f64 v[192:193], v[104:105], s[50:51], v[186:187]
	v_fma_f64 v[16:17], v[104:105], s[36:37], v[186:187]
	v_add_f64 v[0:1], v[192:193], v[0:1]
	v_mul_f64 v[192:193], v[124:125], s[36:37]
	s_delay_alu instid0(VALU_DEP_3) | instskip(NEXT) | instid1(VALU_DEP_2)
	v_add_f64 v[12:13], v[16:17], v[12:13]
	v_fma_f64 v[16:17], v[108:109], s[42:43], -v[192:193]
	v_fma_f64 v[205:206], v[108:109], s[42:43], v[192:193]
	s_delay_alu instid0(VALU_DEP_2) | instskip(SKIP_1) | instid1(VALU_DEP_3)
	v_add_f64 v[16:17], v[16:17], v[14:15]
	v_fma_f64 v[14:15], v[112:113], s[0:1], v[207:208]
	v_add_f64 v[205:206], v[205:206], v[2:3]
	v_fma_f64 v[2:3], v[112:113], s[22:23], v[207:208]
	v_mul_f64 v[207:208], v[134:135], s[42:43]
	s_delay_alu instid0(VALU_DEP_4)
	v_add_f64 v[14:15], v[14:15], v[12:13]
	v_add_f64 v[12:13], v[20:21], v[16:17]
	v_mul_f64 v[20:21], v[94:95], s[30:31]
	v_add_f64 v[2:3], v[2:3], v[0:1]
	v_fma_f64 v[0:1], v[116:117], s[18:19], v[209:210]
	v_mul_f64 v[209:210], v[132:133], s[36:37]
	s_delay_alu instid0(VALU_DEP_4) | instskip(SKIP_1) | instid1(VALU_DEP_4)
	v_fma_f64 v[16:17], v[76:77], s[28:29], v[20:21]
	v_fma_f64 v[20:21], v[76:77], s[44:45], v[20:21]
	v_add_f64 v[0:1], v[0:1], v[205:206]
	s_delay_alu instid0(VALU_DEP_3) | instskip(SKIP_1) | instid1(VALU_DEP_4)
	v_add_f64 v[16:17], v[16:17], v[18:19]
	v_fma_f64 v[18:19], v[78:79], s[30:31], v[22:23]
	v_add_f64 v[20:21], v[20:21], v[72:73]
	v_fma_f64 v[22:23], v[78:79], s[30:31], -v[22:23]
	v_mul_f64 v[72:73], v[90:91], s[20:21]
	v_add_f64 v[16:17], v[42:43], v[16:17]
	v_mul_f64 v[42:43], v[96:97], s[22:23]
	v_add_f64 v[18:19], v[18:19], v[60:61]
	v_add_f64 v[22:23], v[22:23], v[48:49]
	v_add_f64 v[20:21], v[40:41], v[20:21]
	v_mul_f64 v[48:49], v[82:83], s[30:31]
	v_fma_f64 v[44:45], v[82:83], s[18:19], v[42:43]
	v_fma_f64 v[40:41], v[82:83], s[18:19], -v[42:43]
	v_fma_f64 v[42:43], v[116:117], s[42:43], -v[209:210]
	s_delay_alu instid0(VALU_DEP_4) | instskip(SKIP_4) | instid1(VALU_DEP_2)
	v_add_f64 v[48:49], v[48:49], -v[144:145]
	v_mul_f64 v[144:145], v[122:123], s[8:9]
	v_add_f64 v[18:19], v[44:45], v[18:19]
	v_mul_f64 v[44:45], v[110:111], s[24:25]
	v_add_f64 v[22:23], v[40:41], v[22:23]
	v_fma_f64 v[46:47], v[84:85], s[20:21], v[44:45]
	v_fma_f64 v[40:41], v[84:85], s[52:53], v[44:45]
	v_mul_f64 v[44:45], v[94:95], s[16:17]
	s_delay_alu instid0(VALU_DEP_3) | instskip(SKIP_1) | instid1(VALU_DEP_4)
	v_add_f64 v[16:17], v[46:47], v[16:17]
	v_mul_f64 v[46:47], v[106:107], s[52:53]
	v_add_f64 v[20:21], v[40:41], v[20:21]
	s_delay_alu instid0(VALU_DEP_4) | instskip(SKIP_1) | instid1(VALU_DEP_4)
	v_add_f64 v[44:45], v[138:139], v[44:45]
	v_mul_f64 v[138:139], v[106:107], s[50:51]
	v_fma_f64 v[56:57], v[86:87], s[24:25], v[46:47]
	v_fma_f64 v[40:41], v[86:87], s[24:25], -v[46:47]
	v_mul_f64 v[46:47], v[86:87], s[18:19]
	v_add_f64 v[24:25], v[44:45], v[24:25]
	v_mul_f64 v[44:45], v[102:103], s[24:25]
	v_add_f64 v[18:19], v[56:57], v[18:19]
	;; [unrolled: 2-line block ×3, first 2 shown]
	v_add_f64 v[46:47], v[46:47], -v[152:153]
	v_add_f64 v[44:45], v[44:45], -v[182:183]
	v_mul_f64 v[152:153], v[134:135], s[40:41]
	v_mul_f64 v[182:183], v[128:129], s[24:25]
	v_fma_f64 v[58:59], v[88:89], s[46:47], v[56:57]
	v_fma_f64 v[40:41], v[88:89], s[6:7], v[56:57]
	v_mul_f64 v[56:57], v[78:79], s[16:17]
	s_delay_alu instid0(VALU_DEP_3) | instskip(SKIP_1) | instid1(VALU_DEP_4)
	v_add_f64 v[16:17], v[58:59], v[16:17]
	v_mul_f64 v[58:59], v[114:115], s[6:7]
	v_add_f64 v[20:21], v[40:41], v[20:21]
	s_delay_alu instid0(VALU_DEP_4) | instskip(SKIP_1) | instid1(VALU_DEP_4)
	v_add_f64 v[56:57], v[56:57], -v[136:137]
	v_mul_f64 v[136:137], v[110:111], s[42:43]
	v_fma_f64 v[60:61], v[92:93], s[8:9], v[58:59]
	v_fma_f64 v[40:41], v[92:93], s[8:9], -v[58:59]
	s_delay_alu instid0(VALU_DEP_4)
	v_add_f64 v[26:27], v[56:57], v[26:27]
	v_mul_f64 v[58:59], v[118:119], s[42:43]
	v_mul_f64 v[56:57], v[78:79], s[18:19]
	v_add_f64 v[18:19], v[60:61], v[18:19]
	v_mul_f64 v[60:61], v[122:123], s[34:35]
	v_add_f64 v[22:23], v[40:41], v[22:23]
	v_add_f64 v[26:27], v[48:49], v[26:27]
	;; [unrolled: 1-line block ×3, first 2 shown]
	v_mul_f64 v[48:49], v[82:83], s[24:25]
	v_add_f64 v[56:57], v[56:57], -v[126:127]
	v_mul_f64 v[126:127], v[100:101], s[34:35]
	v_mul_f64 v[174:175], v[118:119], s[30:31]
	v_fma_f64 v[70:71], v[98:99], s[54:55], v[60:61]
	v_fma_f64 v[40:41], v[98:99], s[26:27], v[60:61]
	v_mul_f64 v[60:61], v[92:93], s[42:43]
	v_add_f64 v[26:27], v[46:47], v[26:27]
	v_mul_f64 v[46:47], v[134:135], s[34:35]
	v_add_f64 v[48:49], v[48:49], -v[140:141]
	v_add_f64 v[30:31], v[56:57], v[30:31]
	v_mul_f64 v[140:141], v[118:119], s[16:17]
	v_mul_f64 v[56:57], v[94:95], s[40:41]
	v_add_f64 v[16:17], v[70:71], v[16:17]
	v_mul_f64 v[70:71], v[120:121], s[26:27]
	v_add_f64 v[20:21], v[40:41], v[20:21]
	v_add_f64 v[60:61], v[60:61], -v[172:173]
	v_add_f64 v[46:47], v[202:203], v[46:47]
	v_mul_f64 v[172:173], v[106:107], s[46:47]
	v_add_f64 v[30:31], v[48:49], v[30:31]
	v_mul_f64 v[202:203], v[122:123], s[18:19]
	v_fma_f64 v[186:187], v[102:103], s[34:35], v[70:71]
	v_fma_f64 v[40:41], v[102:103], s[34:35], -v[70:71]
	v_mul_f64 v[70:71], v[122:123], s[24:25]
	v_add_f64 v[26:27], v[60:61], v[26:27]
	v_mul_f64 v[60:61], v[92:93], s[40:41]
	v_add_f64 v[18:19], v[186:187], v[18:19]
	;; [unrolled: 2-line block ×3, first 2 shown]
	v_add_f64 v[70:71], v[188:189], v[70:71]
	v_add_f64 v[26:27], v[44:45], v[26:27]
	v_mul_f64 v[44:45], v[116:117], s[34:35]
	v_add_f64 v[60:61], v[60:61], -v[154:155]
	v_mul_f64 v[154:155], v[132:133], s[48:49]
	v_mul_f64 v[188:189], v[134:135], s[16:17]
	v_fma_f64 v[192:193], v[104:105], s[10:11], v[186:187]
	v_fma_f64 v[40:41], v[104:105], s[56:57], v[186:187]
	v_mul_f64 v[186:187], v[124:125], s[52:53]
	v_add_f64 v[44:45], v[44:45], -v[200:201]
	v_mul_f64 v[200:201], v[114:115], s[26:27]
	v_add_f64 v[16:17], v[192:193], v[16:17]
	v_mul_f64 v[192:193], v[124:125], s[56:57]
	v_add_f64 v[20:21], v[40:41], v[20:21]
	s_delay_alu instid0(VALU_DEP_2) | instskip(SKIP_2) | instid1(VALU_DEP_3)
	v_fma_f64 v[40:41], v[108:109], s[16:17], -v[192:193]
	v_fma_f64 v[205:206], v[108:109], s[16:17], v[192:193]
	v_mul_f64 v[192:193], v[96:97], s[56:57]
	v_add_f64 v[40:41], v[40:41], v[22:23]
	v_fma_f64 v[22:23], v[112:113], s[36:37], v[207:208]
	s_delay_alu instid0(VALU_DEP_4) | instskip(SKIP_2) | instid1(VALU_DEP_4)
	v_add_f64 v[205:206], v[205:206], v[18:19]
	v_fma_f64 v[18:19], v[112:113], s[50:51], v[207:208]
	v_mul_f64 v[207:208], v[128:129], s[8:9]
	v_add_f64 v[22:23], v[22:23], v[20:21]
	v_add_f64 v[20:21], v[42:43], v[40:41]
	v_mul_f64 v[42:43], v[100:101], s[30:31]
	v_mul_f64 v[40:41], v[110:111], s[18:19]
	v_add_f64 v[18:19], v[18:19], v[16:17]
	v_fma_f64 v[16:17], v[116:117], s[42:43], v[209:210]
	v_mul_f64 v[209:210], v[124:125], s[6:7]
	v_add_f64 v[42:43], v[148:149], v[42:43]
	v_add_f64 v[40:41], v[158:159], v[40:41]
	v_mul_f64 v[148:149], v[128:129], s[18:19]
	v_mul_f64 v[158:159], v[100:101], s[42:43]
	v_add_f64 v[16:17], v[16:17], v[205:206]
	v_mul_f64 v[205:206], v[120:121], s[0:1]
	v_add_f64 v[24:25], v[42:43], v[24:25]
	v_mul_f64 v[42:43], v[128:129], s[40:41]
	s_delay_alu instid0(VALU_DEP_2) | instskip(SKIP_1) | instid1(VALU_DEP_3)
	v_add_f64 v[24:25], v[40:41], v[24:25]
	v_mul_f64 v[40:41], v[108:109], s[40:41]
	v_add_f64 v[42:43], v[198:199], v[42:43]
	v_mul_f64 v[198:199], v[118:119], s[34:35]
	s_delay_alu instid0(VALU_DEP_4) | instskip(NEXT) | instid1(VALU_DEP_4)
	v_add_f64 v[24:25], v[58:59], v[24:25]
	v_add_f64 v[40:41], v[40:41], -v[196:197]
	v_mul_f64 v[58:59], v[118:119], s[40:41]
	v_mul_f64 v[196:197], v[106:107], s[28:29]
	s_delay_alu instid0(VALU_DEP_4) | instskip(NEXT) | instid1(VALU_DEP_4)
	v_add_f64 v[24:25], v[70:71], v[24:25]
	v_add_f64 v[40:41], v[40:41], v[26:27]
	s_delay_alu instid0(VALU_DEP_4) | instskip(SKIP_4) | instid1(VALU_DEP_4)
	v_add_f64 v[58:59], v[156:157], v[58:59]
	v_mul_f64 v[70:71], v[122:123], s[42:43]
	v_mul_f64 v[156:157], v[90:91], s[26:27]
	v_add_f64 v[24:25], v[42:43], v[24:25]
	v_mul_f64 v[42:43], v[100:101], s[24:25]
	v_add_f64 v[70:71], v[170:171], v[70:71]
	v_mul_f64 v[170:171], v[110:111], s[8:9]
	s_delay_alu instid0(VALU_DEP_4)
	v_add_f64 v[26:27], v[46:47], v[24:25]
	v_add_f64 v[24:25], v[44:45], v[40:41]
	v_mul_f64 v[44:45], v[94:95], s[18:19]
	v_mul_f64 v[40:41], v[110:111], s[34:35]
	v_add_f64 v[42:43], v[142:143], v[42:43]
	v_mul_f64 v[46:47], v[86:87], s[34:35]
	v_mul_f64 v[142:143], v[114:115], s[56:57]
	v_add_f64 v[44:45], v[130:131], v[44:45]
	v_add_f64 v[40:41], v[150:151], v[40:41]
	v_mul_f64 v[130:131], v[96:97], s[54:55]
	v_add_f64 v[46:47], v[46:47], -v[146:147]
	v_mul_f64 v[146:147], v[120:121], s[6:7]
	v_mul_f64 v[150:151], v[124:125], s[22:23]
	v_add_f64 v[28:29], v[44:45], v[28:29]
	v_mul_f64 v[44:45], v[102:103], s[42:43]
	v_add_f64 v[30:31], v[46:47], v[30:31]
	v_mul_f64 v[46:47], v[134:135], s[8:9]
	s_delay_alu instid0(VALU_DEP_4) | instskip(NEXT) | instid1(VALU_DEP_4)
	v_add_f64 v[28:29], v[42:43], v[28:29]
	v_add_f64 v[44:45], v[44:45], -v[164:165]
	v_mul_f64 v[42:43], v[128:129], s[30:31]
	v_add_f64 v[30:31], v[60:61], v[30:31]
	v_add_f64 v[46:47], v[194:195], v[46:47]
	v_mul_f64 v[60:61], v[94:95], s[34:35]
	v_mul_f64 v[164:165], v[96:97], s[50:51]
	;; [unrolled: 1-line block ×3, first 2 shown]
	v_add_f64 v[28:29], v[40:41], v[28:29]
	v_mul_f64 v[40:41], v[108:109], s[30:31]
	v_add_f64 v[42:43], v[180:181], v[42:43]
	v_add_f64 v[30:31], v[44:45], v[30:31]
	v_mul_f64 v[44:45], v[116:117], s[8:9]
	v_mul_f64 v[180:181], v[120:121], s[48:49]
	v_add_f64 v[28:29], v[58:59], v[28:29]
	v_add_f64 v[40:41], v[40:41], -v[178:179]
	v_mul_f64 v[178:179], v[122:123], s[40:41]
	v_mul_f64 v[58:59], v[90:91], s[38:39]
	v_add_f64 v[44:45], v[44:45], -v[190:191]
	v_mul_f64 v[190:191], v[132:133], s[56:57]
	v_mul_f64 v[132:133], v[132:133], s[44:45]
	v_add_f64 v[28:29], v[70:71], v[28:29]
	v_add_f64 v[40:41], v[40:41], v[30:31]
	v_mul_f64 v[70:71], v[94:95], s[24:25]
	s_delay_alu instid0(VALU_DEP_3) | instskip(SKIP_1) | instid1(VALU_DEP_2)
	v_add_f64 v[28:29], v[42:43], v[28:29]
	v_fma_f64 v[42:43], v[78:79], s[34:35], -v[156:157]
	v_add_f64 v[30:31], v[46:47], v[28:29]
	v_add_f64 v[28:29], v[44:45], v[40:41]
	v_fma_f64 v[40:41], v[76:77], s[20:21], v[70:71]
	v_fma_f64 v[44:45], v[80:81], s[50:51], v[158:159]
	v_add_f64 v[42:43], v[42:43], v[54:55]
	v_fma_f64 v[46:47], v[78:79], s[40:41], -v[58:59]
	v_mul_f64 v[54:55], v[90:91], s[50:51]
	v_fma_f64 v[58:59], v[78:79], s[40:41], v[58:59]
	v_add_f64 v[32:33], v[40:41], v[32:33]
	v_fma_f64 v[40:41], v[78:79], s[24:25], -v[72:73]
	v_add_f64 v[46:47], v[46:47], v[52:53]
	v_mul_f64 v[52:53], v[94:95], s[42:43]
	v_fma_f64 v[90:91], v[78:79], s[42:43], -v[54:55]
	v_fma_f64 v[54:55], v[78:79], s[42:43], v[54:55]
	v_add_f64 v[58:59], v[58:59], v[64:65]
	v_fma_f64 v[64:65], v[116:117], s[24:25], v[213:214]
	v_add_f64 v[34:35], v[40:41], v[34:35]
	;; [unrolled: 2-line block ×3, first 2 shown]
	v_mul_f64 v[90:91], v[100:101], s[8:9]
	v_add_f64 v[54:55], v[54:55], v[62:63]
	s_delay_alu instid0(VALU_DEP_4) | instskip(SKIP_1) | instid1(VALU_DEP_4)
	v_add_f64 v[32:33], v[40:41], v[32:33]
	v_fma_f64 v[40:41], v[82:83], s[34:35], -v[130:131]
	v_fma_f64 v[94:95], v[80:81], s[6:7], v[90:91]
	v_fma_f64 v[62:63], v[80:81], s[46:47], v[90:91]
	s_delay_alu instid0(VALU_DEP_3) | instskip(SKIP_1) | instid1(VALU_DEP_1)
	v_add_f64 v[34:35], v[40:41], v[34:35]
	v_fma_f64 v[40:41], v[84:85], s[50:51], v[136:137]
	v_add_f64 v[32:33], v[40:41], v[32:33]
	v_fma_f64 v[40:41], v[86:87], s[42:43], -v[138:139]
	s_delay_alu instid0(VALU_DEP_1) | instskip(SKIP_1) | instid1(VALU_DEP_1)
	v_add_f64 v[34:35], v[40:41], v[34:35]
	v_fma_f64 v[40:41], v[88:89], s[56:57], v[140:141]
	v_add_f64 v[32:33], v[40:41], v[32:33]
	v_fma_f64 v[40:41], v[92:93], s[16:17], -v[142:143]
	s_delay_alu instid0(VALU_DEP_1) | instskip(SKIP_1) | instid1(VALU_DEP_1)
	;; [unrolled: 5-line block ×4, first 2 shown]
	v_add_f64 v[40:41], v[40:41], v[34:35]
	v_fma_f64 v[34:35], v[112:113], s[48:49], v[152:153]
	v_add_f64 v[34:35], v[34:35], v[32:33]
	v_fma_f64 v[32:33], v[116:117], s[40:41], -v[154:155]
	s_delay_alu instid0(VALU_DEP_1) | instskip(SKIP_2) | instid1(VALU_DEP_2)
	v_add_f64 v[32:33], v[32:33], v[40:41]
	v_fma_f64 v[40:41], v[76:77], s[26:27], v[60:61]
	v_fma_f64 v[60:61], v[76:77], s[54:55], v[60:61]
	v_add_f64 v[40:41], v[40:41], v[176:177]
	v_mul_f64 v[176:177], v[114:115], s[28:29]
	s_delay_alu instid0(VALU_DEP_3) | instskip(NEXT) | instid1(VALU_DEP_3)
	v_add_f64 v[60:61], v[60:61], v[168:169]
	v_add_f64 v[40:41], v[44:45], v[40:41]
	v_fma_f64 v[44:45], v[82:83], s[42:43], -v[164:165]
	s_delay_alu instid0(VALU_DEP_1) | instskip(SKIP_1) | instid1(VALU_DEP_1)
	v_add_f64 v[42:43], v[44:45], v[42:43]
	v_fma_f64 v[44:45], v[84:85], s[46:47], v[170:171]
	v_add_f64 v[40:41], v[44:45], v[40:41]
	v_fma_f64 v[44:45], v[86:87], s[8:9], -v[172:173]
	s_delay_alu instid0(VALU_DEP_1) | instskip(SKIP_1) | instid1(VALU_DEP_1)
	v_add_f64 v[42:43], v[44:45], v[42:43]
	v_fma_f64 v[44:45], v[88:89], s[28:29], v[174:175]
	;; [unrolled: 5-line block ×5, first 2 shown]
	v_add_f64 v[42:43], v[42:43], v[40:41]
	v_fma_f64 v[40:41], v[116:117], s[16:17], -v[190:191]
	s_delay_alu instid0(VALU_DEP_1) | instskip(SKIP_2) | instid1(VALU_DEP_2)
	v_add_f64 v[40:41], v[40:41], v[44:45]
	v_fma_f64 v[44:45], v[76:77], s[38:39], v[56:57]
	v_fma_f64 v[56:57], v[76:77], s[48:49], v[56:57]
	v_add_f64 v[44:45], v[44:45], v[166:167]
	v_mul_f64 v[166:167], v[100:101], s[16:17]
	s_delay_alu instid0(VALU_DEP_3) | instskip(NEXT) | instid1(VALU_DEP_2)
	v_add_f64 v[56:57], v[56:57], v[162:163]
	v_fma_f64 v[48:49], v[80:81], s[56:57], v[166:167]
	s_delay_alu instid0(VALU_DEP_1) | instskip(SKIP_1) | instid1(VALU_DEP_1)
	v_add_f64 v[44:45], v[48:49], v[44:45]
	v_fma_f64 v[48:49], v[82:83], s[16:17], -v[192:193]
	v_add_f64 v[46:47], v[48:49], v[46:47]
	v_fma_f64 v[48:49], v[84:85], s[28:29], v[194:195]
	s_delay_alu instid0(VALU_DEP_1) | instskip(SKIP_1) | instid1(VALU_DEP_1)
	v_add_f64 v[44:45], v[48:49], v[44:45]
	v_fma_f64 v[48:49], v[86:87], s[30:31], -v[196:197]
	;; [unrolled: 5-line block ×6, first 2 shown]
	v_add_f64 v[44:45], v[44:45], v[48:49]
	v_fma_f64 v[48:49], v[76:77], s[50:51], v[52:53]
	v_fma_f64 v[52:53], v[76:77], s[36:37], v[52:53]
	s_delay_alu instid0(VALU_DEP_2) | instskip(NEXT) | instid1(VALU_DEP_2)
	v_add_f64 v[48:49], v[48:49], v[160:161]
	v_add_f64 v[52:53], v[52:53], v[74:75]
	v_fma_f64 v[74:75], v[116:117], s[30:31], v[132:133]
	s_delay_alu instid0(VALU_DEP_3) | instskip(SKIP_1) | instid1(VALU_DEP_4)
	v_add_f64 v[48:49], v[94:95], v[48:49]
	v_mul_f64 v[94:95], v[96:97], s[6:7]
	v_add_f64 v[52:53], v[62:63], v[52:53]
	s_delay_alu instid0(VALU_DEP_2) | instskip(SKIP_1) | instid1(VALU_DEP_2)
	v_fma_f64 v[96:97], v[82:83], s[8:9], -v[94:95]
	v_fma_f64 v[62:63], v[82:83], s[8:9], v[94:95]
	v_add_f64 v[50:51], v[96:97], v[50:51]
	v_mul_f64 v[96:97], v[110:111], s[40:41]
	s_delay_alu instid0(VALU_DEP_3) | instskip(NEXT) | instid1(VALU_DEP_2)
	v_add_f64 v[54:55], v[62:63], v[54:55]
	v_fma_f64 v[100:101], v[84:85], s[48:49], v[96:97]
	v_fma_f64 v[62:63], v[84:85], s[38:39], v[96:97]
	s_delay_alu instid0(VALU_DEP_2) | instskip(SKIP_1) | instid1(VALU_DEP_3)
	v_add_f64 v[48:49], v[100:101], v[48:49]
	v_mul_f64 v[100:101], v[106:107], s[48:49]
	v_add_f64 v[52:53], v[62:63], v[52:53]
	s_delay_alu instid0(VALU_DEP_2) | instskip(SKIP_1) | instid1(VALU_DEP_2)
	v_fma_f64 v[106:107], v[86:87], s[40:41], -v[100:101]
	v_fma_f64 v[62:63], v[86:87], s[40:41], v[100:101]
	v_add_f64 v[50:51], v[106:107], v[50:51]
	v_mul_f64 v[106:107], v[118:119], s[18:19]
	s_delay_alu instid0(VALU_DEP_3) | instskip(NEXT) | instid1(VALU_DEP_2)
	v_add_f64 v[54:55], v[62:63], v[54:55]
	v_fma_f64 v[110:111], v[88:89], s[0:1], v[106:107]
	v_fma_f64 v[62:63], v[88:89], s[22:23], v[106:107]
	s_delay_alu instid0(VALU_DEP_2) | instskip(SKIP_1) | instid1(VALU_DEP_3)
	;; [unrolled: 13-line block ×3, first 2 shown]
	v_add_f64 v[48:49], v[118:119], v[48:49]
	v_mul_f64 v[118:119], v[120:121], s[10:11]
	v_add_f64 v[52:53], v[62:63], v[52:53]
	s_delay_alu instid0(VALU_DEP_2) | instskip(SKIP_1) | instid1(VALU_DEP_2)
	v_fma_f64 v[120:121], v[102:103], s[16:17], -v[118:119]
	v_fma_f64 v[62:63], v[102:103], s[16:17], v[118:119]
	v_add_f64 v[50:51], v[120:121], v[50:51]
	v_mul_f64 v[120:121], v[128:129], s[34:35]
	s_delay_alu instid0(VALU_DEP_3) | instskip(SKIP_1) | instid1(VALU_DEP_3)
	v_add_f64 v[54:55], v[62:63], v[54:55]
	v_mul_f64 v[128:129], v[134:135], s[30:31]
	v_fma_f64 v[122:123], v[104:105], s[26:27], v[120:121]
	v_fma_f64 v[62:63], v[104:105], s[54:55], v[120:121]
	s_delay_alu instid0(VALU_DEP_2) | instskip(SKIP_1) | instid1(VALU_DEP_3)
	v_add_f64 v[48:49], v[122:123], v[48:49]
	v_mul_f64 v[122:123], v[124:125], s[26:27]
	v_add_f64 v[52:53], v[62:63], v[52:53]
	s_delay_alu instid0(VALU_DEP_2) | instskip(SKIP_1) | instid1(VALU_DEP_2)
	v_fma_f64 v[62:63], v[108:109], s[34:35], v[122:123]
	v_fma_f64 v[124:125], v[108:109], s[34:35], -v[122:123]
	v_add_f64 v[62:63], v[62:63], v[54:55]
	v_fma_f64 v[54:55], v[112:113], s[28:29], v[128:129]
	s_delay_alu instid0(VALU_DEP_3) | instskip(SKIP_1) | instid1(VALU_DEP_3)
	v_add_f64 v[124:125], v[124:125], v[50:51]
	v_fma_f64 v[50:51], v[112:113], s[44:45], v[128:129]
	v_add_f64 v[54:55], v[54:55], v[52:53]
	v_add_f64 v[52:53], v[74:75], v[62:63]
	v_fma_f64 v[62:63], v[80:81], s[10:11], v[166:167]
	s_delay_alu instid0(VALU_DEP_4) | instskip(SKIP_1) | instid1(VALU_DEP_3)
	v_add_f64 v[50:51], v[50:51], v[48:49]
	v_fma_f64 v[48:49], v[116:117], s[30:31], -v[132:133]
	v_add_f64 v[56:57], v[62:63], v[56:57]
	v_fma_f64 v[62:63], v[82:83], s[16:17], v[192:193]
	s_delay_alu instid0(VALU_DEP_3) | instskip(NEXT) | instid1(VALU_DEP_2)
	v_add_f64 v[48:49], v[48:49], v[124:125]
	v_add_f64 v[58:59], v[62:63], v[58:59]
	v_fma_f64 v[62:63], v[84:85], s[44:45], v[194:195]
	s_delay_alu instid0(VALU_DEP_1) | instskip(SKIP_1) | instid1(VALU_DEP_1)
	v_add_f64 v[56:57], v[62:63], v[56:57]
	v_fma_f64 v[62:63], v[86:87], s[30:31], v[196:197]
	v_add_f64 v[58:59], v[62:63], v[58:59]
	v_fma_f64 v[62:63], v[88:89], s[54:55], v[198:199]
	s_delay_alu instid0(VALU_DEP_1) | instskip(SKIP_1) | instid1(VALU_DEP_1)
	v_add_f64 v[56:57], v[62:63], v[56:57]
	v_fma_f64 v[62:63], v[92:93], s[34:35], v[200:201]
	;; [unrolled: 5-line block ×4, first 2 shown]
	v_add_f64 v[62:63], v[62:63], v[58:59]
	v_fma_f64 v[58:59], v[112:113], s[52:53], v[211:212]
	s_delay_alu instid0(VALU_DEP_1) | instskip(NEXT) | instid1(VALU_DEP_3)
	v_add_f64 v[58:59], v[58:59], v[56:57]
	v_add_f64 v[56:57], v[64:65], v[62:63]
	v_fma_f64 v[62:63], v[78:79], s[34:35], v[156:157]
	v_fma_f64 v[64:65], v[80:81], s[36:37], v[158:159]
	s_delay_alu instid0(VALU_DEP_2) | instskip(NEXT) | instid1(VALU_DEP_2)
	v_add_f64 v[62:63], v[62:63], v[66:67]
	v_add_f64 v[60:61], v[64:65], v[60:61]
	v_fma_f64 v[64:65], v[82:83], s[42:43], v[164:165]
	v_fma_f64 v[66:67], v[116:117], s[16:17], v[190:191]
	s_delay_alu instid0(VALU_DEP_2) | instskip(SKIP_1) | instid1(VALU_DEP_1)
	v_add_f64 v[62:63], v[64:65], v[62:63]
	v_fma_f64 v[64:65], v[84:85], s[6:7], v[170:171]
	v_add_f64 v[60:61], v[64:65], v[60:61]
	v_fma_f64 v[64:65], v[86:87], s[8:9], v[172:173]
	s_delay_alu instid0(VALU_DEP_1) | instskip(SKIP_1) | instid1(VALU_DEP_1)
	v_add_f64 v[62:63], v[64:65], v[62:63]
	v_fma_f64 v[64:65], v[88:89], s[44:45], v[174:175]
	v_add_f64 v[60:61], v[64:65], v[60:61]
	v_fma_f64 v[64:65], v[92:93], s[30:31], v[176:177]
	s_delay_alu instid0(VALU_DEP_1) | instskip(SKIP_1) | instid1(VALU_DEP_1)
	;; [unrolled: 5-line block ×4, first 2 shown]
	v_add_f64 v[64:65], v[64:65], v[62:63]
	v_fma_f64 v[62:63], v[112:113], s[10:11], v[188:189]
	v_add_f64 v[62:63], v[62:63], v[60:61]
	s_delay_alu instid0(VALU_DEP_3) | instskip(SKIP_4) | instid1(VALU_DEP_4)
	v_add_f64 v[60:61], v[66:67], v[64:65]
	v_fma_f64 v[64:65], v[76:77], s[52:53], v[70:71]
	v_fma_f64 v[66:67], v[78:79], s[24:25], v[72:73]
	;; [unrolled: 1-line block ×4, first 2 shown]
	v_add_f64 v[64:65], v[64:65], v[184:185]
	s_delay_alu instid0(VALU_DEP_4) | instskip(SKIP_1) | instid1(VALU_DEP_3)
	v_add_f64 v[66:67], v[66:67], v[68:69]
	v_fma_f64 v[68:69], v[84:85], s[36:37], v[136:137]
	v_add_f64 v[64:65], v[70:71], v[64:65]
	v_fma_f64 v[70:71], v[86:87], s[42:43], v[138:139]
	s_delay_alu instid0(VALU_DEP_4) | instskip(SKIP_1) | instid1(VALU_DEP_4)
	v_add_f64 v[66:67], v[72:73], v[66:67]
	v_fma_f64 v[72:73], v[88:89], s[10:11], v[140:141]
	v_add_f64 v[64:65], v[68:69], v[64:65]
	v_fma_f64 v[68:69], v[92:93], s[16:17], v[142:143]
	s_delay_alu instid0(VALU_DEP_4) | instskip(SKIP_1) | instid1(VALU_DEP_4)
	;; [unrolled: 5-line block ×4, first 2 shown]
	v_add_f64 v[66:67], v[72:73], v[66:67]
	v_fma_f64 v[72:73], v[112:113], s[38:39], v[152:153]
	v_add_f64 v[64:65], v[68:69], v[64:65]
	v_fma_f64 v[68:69], v[116:117], s[40:41], v[154:155]
	s_delay_alu instid0(VALU_DEP_4) | instskip(NEXT) | instid1(VALU_DEP_3)
	v_add_f64 v[70:71], v[70:71], v[66:67]
	v_add_f64 v[66:67], v[72:73], v[64:65]
	s_delay_alu instid0(VALU_DEP_2) | instskip(SKIP_1) | instid1(VALU_DEP_1)
	v_add_f64 v[64:65], v[68:69], v[70:71]
	v_mul_lo_u16 v68, v224, 17
	v_and_b32_e32 v68, 0xffff, v68
	s_delay_alu instid0(VALU_DEP_1)
	v_add_lshl_u32 v68, v204, v68, 4
	ds_store_b128 v68, v[8:11]
	ds_store_b128 v68, v[24:27] offset:16
	ds_store_b128 v68, v[28:31] offset:32
	;; [unrolled: 1-line block ×16, first 2 shown]
.LBB0_7:
	s_or_b32 exec_lo, exec_lo, s33
	v_add_lshl_u32 v255, v204, v224, 4
	s_waitcnt lgkmcnt(0)
	s_barrier
	buffer_gl0_inv
	v_cmp_gt_u16_e64 s0, 17, v224
	ds_load_b128 v[56:59], v255
	ds_load_b128 v[48:51], v255 offset:1360
	ds_load_b128 v[20:23], v255 offset:8704
	;; [unrolled: 1-line block ×14, first 2 shown]
                                        ; implicit-def: $vgpr80_vgpr81
                                        ; implicit-def: $vgpr84_vgpr85
                                        ; implicit-def: $vgpr88_vgpr89
	s_and_saveexec_b32 s1, s0
	s_cbranch_execz .LBB0_9
; %bb.8:
	ds_load_b128 v[36:39], v255 offset:4080
	ds_load_b128 v[4:7], v255 offset:8432
	;; [unrolled: 1-line block ×5, first 2 shown]
.LBB0_9:
	s_or_b32 exec_lo, exec_lo, s1
	v_and_b32_e32 v16, 0xff, v224
	s_mov_b32 s10, 0x134454ff
	s_mov_b32 s11, 0x3fee6f0e
	;; [unrolled: 1-line block ×4, first 2 shown]
	v_mul_lo_u16 v16, 0xf1, v16
	s_mov_b32 s8, 0x4755a5e
	s_mov_b32 s9, 0x3fe2cf23
	;; [unrolled: 1-line block ×4, first 2 shown]
	v_lshrrev_b16 v142, 12, v16
	s_mov_b32 s20, 0x372fe950
	s_mov_b32 s21, 0x3fd3c6ef
	s_load_b128 s[4:7], s[4:5], 0x0
	s_delay_alu instid0(VALU_DEP_1) | instskip(NEXT) | instid1(VALU_DEP_1)
	v_mul_lo_u16 v16, v142, 17
	v_sub_nc_u16 v16, v224, v16
	s_delay_alu instid0(VALU_DEP_1) | instskip(NEXT) | instid1(VALU_DEP_1)
	v_and_b32_e32 v145, 0xff, v16
	v_lshlrev_b32_e32 v16, 6, v145
	global_load_b128 v[74:77], v16, s[2:3]
	s_waitcnt vmcnt(0) lgkmcnt(0)
	v_mul_f64 v[72:73], v[26:27], v[76:77]
	s_delay_alu instid0(VALU_DEP_1) | instskip(SKIP_1) | instid1(VALU_DEP_1)
	v_fma_f64 v[126:127], v[24:25], v[74:75], -v[72:73]
	v_mul_f64 v[24:25], v[24:25], v[76:77]
	v_fma_f64 v[124:125], v[26:27], v[74:75], v[24:25]
	global_load_b128 v[24:27], v16, s[2:3] offset:16
	scratch_store_b128 off, v[74:77], off offset:32 ; 16-byte Folded Spill
	s_waitcnt vmcnt(0)
	scratch_store_b128 off, v[24:27], off offset:48 ; 16-byte Folded Spill
	v_mul_f64 v[72:73], v[22:23], v[26:27]
	s_delay_alu instid0(VALU_DEP_1) | instskip(SKIP_1) | instid1(VALU_DEP_1)
	v_fma_f64 v[128:129], v[20:21], v[24:25], -v[72:73]
	v_mul_f64 v[20:21], v[20:21], v[26:27]
	v_fma_f64 v[130:131], v[22:23], v[24:25], v[20:21]
	global_load_b128 v[22:25], v16, s[2:3] offset:32
	s_waitcnt vmcnt(0)
	v_mul_f64 v[72:73], v[30:31], v[24:25]
	s_delay_alu instid0(VALU_DEP_1) | instskip(SKIP_1) | instid1(VALU_DEP_2)
	v_fma_f64 v[132:133], v[28:29], v[22:23], -v[72:73]
	v_mul_f64 v[28:29], v[28:29], v[24:25]
	v_add_f64 v[153:154], v[128:129], -v[132:133]
	s_delay_alu instid0(VALU_DEP_2) | instskip(SKIP_2) | instid1(VALU_DEP_1)
	v_fma_f64 v[134:135], v[30:31], v[22:23], v[28:29]
	global_load_b128 v[26:29], v16, s[2:3] offset:48
	v_add_nc_u16 v16, v224, 0x55
	v_and_b32_e32 v17, 0xff, v16
	s_delay_alu instid0(VALU_DEP_1) | instskip(NEXT) | instid1(VALU_DEP_1)
	v_mul_lo_u16 v17, 0xf1, v17
	v_lshrrev_b16 v140, 12, v17
	s_delay_alu instid0(VALU_DEP_1) | instskip(NEXT) | instid1(VALU_DEP_1)
	v_mul_lo_u16 v17, v140, 17
	v_sub_nc_u16 v16, v16, v17
	s_delay_alu instid0(VALU_DEP_1) | instskip(NEXT) | instid1(VALU_DEP_1)
	v_and_b32_e32 v141, 0xff, v16
	v_lshlrev_b32_e32 v16, 6, v141
	v_add_f64 v[149:150], v[130:131], -v[134:135]
	global_load_b128 v[74:77], v16, s[2:3] offset:32
	s_waitcnt vmcnt(1)
	v_mul_f64 v[72:73], v[32:33], v[28:29]
	s_delay_alu instid0(VALU_DEP_1) | instskip(SKIP_1) | instid1(VALU_DEP_2)
	v_fma_f64 v[136:137], v[34:35], v[26:27], v[72:73]
	v_mul_f64 v[34:35], v[34:35], v[28:29]
	v_add_f64 v[147:148], v[124:125], -v[136:137]
	s_delay_alu instid0(VALU_DEP_2) | instskip(SKIP_4) | instid1(VALU_DEP_1)
	v_fma_f64 v[138:139], v[32:33], v[26:27], -v[34:35]
	global_load_b128 v[30:33], v16, s[2:3]
	v_add_f64 v[151:152], v[126:127], -v[138:139]
	s_waitcnt vmcnt(0)
	v_mul_f64 v[72:73], v[46:47], v[32:33]
	v_fma_f64 v[110:111], v[44:45], v[30:31], -v[72:73]
	v_mul_f64 v[44:45], v[44:45], v[32:33]
	s_delay_alu instid0(VALU_DEP_1) | instskip(SKIP_3) | instid1(VALU_DEP_1)
	v_fma_f64 v[108:109], v[46:47], v[30:31], v[44:45]
	global_load_b128 v[44:47], v16, s[2:3] offset:16
	s_waitcnt vmcnt(0)
	v_mul_f64 v[72:73], v[54:55], v[46:47]
	v_fma_f64 v[114:115], v[52:53], v[44:45], -v[72:73]
	v_mul_f64 v[72:73], v[62:63], v[76:77]
	v_mul_f64 v[52:53], v[52:53], v[46:47]
	s_delay_alu instid0(VALU_DEP_2) | instskip(SKIP_1) | instid1(VALU_DEP_3)
	v_fma_f64 v[118:119], v[60:61], v[74:75], -v[72:73]
	v_mul_f64 v[60:61], v[60:61], v[76:77]
	v_fma_f64 v[116:117], v[54:55], v[44:45], v[52:53]
	s_delay_alu instid0(VALU_DEP_2) | instskip(SKIP_2) | instid1(VALU_DEP_1)
	v_fma_f64 v[112:113], v[62:63], v[74:75], v[60:61]
	global_load_b128 v[60:63], v16, s[2:3] offset:48
	v_add_nc_u16 v16, v224, 0xaa
	v_and_b32_e32 v17, 0xff, v16
	s_delay_alu instid0(VALU_DEP_1) | instskip(NEXT) | instid1(VALU_DEP_1)
	v_mul_lo_u16 v17, 0xf1, v17
	v_lshrrev_b16 v143, 12, v17
	s_delay_alu instid0(VALU_DEP_1) | instskip(NEXT) | instid1(VALU_DEP_1)
	v_mul_lo_u16 v17, v143, 17
	v_sub_nc_u16 v16, v16, v17
	s_delay_alu instid0(VALU_DEP_1) | instskip(NEXT) | instid1(VALU_DEP_1)
	v_and_b32_e32 v144, 0xff, v16
	v_lshlrev_b32_e32 v16, 6, v144
	global_load_b128 v[17:20], v16, s[2:3] offset:32
	s_waitcnt vmcnt(1)
	v_mul_f64 v[72:73], v[68:69], v[62:63]
	s_delay_alu instid0(VALU_DEP_1) | instskip(SKIP_1) | instid1(VALU_DEP_1)
	v_fma_f64 v[120:121], v[70:71], v[60:61], v[72:73]
	v_mul_f64 v[70:71], v[70:71], v[62:63]
	v_fma_f64 v[122:123], v[68:69], v[60:61], -v[70:71]
	global_load_b128 v[68:71], v16, s[2:3]
	s_waitcnt vmcnt(0)
	v_mul_f64 v[72:73], v[66:67], v[70:71]
	s_delay_alu instid0(VALU_DEP_1) | instskip(SKIP_1) | instid1(VALU_DEP_1)
	v_fma_f64 v[94:95], v[64:65], v[68:69], -v[72:73]
	v_mul_f64 v[64:65], v[64:65], v[70:71]
	v_fma_f64 v[92:93], v[66:67], v[68:69], v[64:65]
	global_load_b128 v[64:67], v16, s[2:3] offset:16
	s_waitcnt vmcnt(0)
	v_mul_f64 v[72:73], v[14:15], v[66:67]
	s_delay_alu instid0(VALU_DEP_1) | instskip(SKIP_1) | instid1(VALU_DEP_1)
	v_fma_f64 v[98:99], v[12:13], v[64:65], -v[72:73]
	v_mul_f64 v[12:13], v[12:13], v[66:67]
	v_fma_f64 v[100:101], v[14:15], v[64:65], v[12:13]
	v_mul_f64 v[12:13], v[10:11], v[19:20]
	s_delay_alu instid0(VALU_DEP_1) | instskip(SKIP_1) | instid1(VALU_DEP_1)
	v_fma_f64 v[102:103], v[8:9], v[17:18], -v[12:13]
	v_mul_f64 v[8:9], v[8:9], v[19:20]
	v_fma_f64 v[96:97], v[10:11], v[17:18], v[8:9]
	global_load_b128 v[10:13], v16, s[2:3] offset:48
	scratch_store_b128 off, v[17:20], off offset:128 ; 16-byte Folded Spill
	s_waitcnt vmcnt(0)
	scratch_store_b128 off, v[10:13], off offset:144 ; 16-byte Folded Spill
	v_mul_f64 v[8:9], v[2:3], v[12:13]
	s_delay_alu instid0(VALU_DEP_1) | instskip(SKIP_1) | instid1(VALU_DEP_1)
	v_fma_f64 v[104:105], v[0:1], v[10:11], -v[8:9]
	v_mul_f64 v[0:1], v[0:1], v[12:13]
	v_fma_f64 v[106:107], v[2:3], v[10:11], v[0:1]
	v_add_nc_u32_e32 v0, 0xff, v224
	s_delay_alu instid0(VALU_DEP_1) | instskip(NEXT) | instid1(VALU_DEP_1)
	v_and_b32_e32 v1, 0xffff, v0
	v_mul_u32_u24_e32 v1, 0xf0f1, v1
	s_delay_alu instid0(VALU_DEP_1) | instskip(NEXT) | instid1(VALU_DEP_1)
	v_lshrrev_b32_e32 v1, 20, v1
	v_mul_lo_u16 v1, v1, 17
	s_delay_alu instid0(VALU_DEP_1) | instskip(NEXT) | instid1(VALU_DEP_1)
	v_sub_nc_u16 v146, v0, v1
	v_lshlrev_b16 v0, 2, v146
	v_and_b32_e32 v72, 0xffff, v146
	s_delay_alu instid0(VALU_DEP_2) | instskip(NEXT) | instid1(VALU_DEP_1)
	v_and_b32_e32 v0, 0xffff, v0
	v_lshlrev_b32_e32 v12, 4, v0
	s_clause 0x1
	global_load_b128 v[8:11], v12, s[2:3]
	global_load_b128 v[13:16], v12, s[2:3] offset:16
	s_waitcnt vmcnt(1)
	v_mul_f64 v[0:1], v[6:7], v[10:11]
	v_mul_f64 v[2:3], v[4:5], v[10:11]
	scratch_store_b128 off, v[8:11], off offset:280 ; 16-byte Folded Spill
	s_waitcnt vmcnt(0)
	scratch_store_b128 off, v[13:16], off offset:296 ; 16-byte Folded Spill
	v_fma_f64 v[0:1], v[4:5], v[8:9], -v[0:1]
	v_fma_f64 v[8:9], v[6:7], v[8:9], v[2:3]
	v_mul_f64 v[2:3], v[82:83], v[15:16]
	v_mul_f64 v[4:5], v[80:81], v[15:16]
	s_delay_alu instid0(VALU_DEP_2) | instskip(NEXT) | instid1(VALU_DEP_2)
	v_fma_f64 v[2:3], v[80:81], v[13:14], -v[2:3]
	v_fma_f64 v[4:5], v[82:83], v[13:14], v[4:5]
	global_load_b128 v[13:16], v12, s[2:3] offset:32
	s_waitcnt vmcnt(0)
	v_mul_f64 v[6:7], v[86:87], v[15:16]
	v_mul_f64 v[10:11], v[84:85], v[15:16]
	scratch_store_b128 off, v[13:16], off offset:312 ; 16-byte Folded Spill
	v_fma_f64 v[6:7], v[84:85], v[13:14], -v[6:7]
	v_fma_f64 v[10:11], v[86:87], v[13:14], v[10:11]
	global_load_b128 v[14:17], v12, s[2:3] offset:48
	v_add_f64 v[84:85], v[136:137], -v[134:135]
	s_waitcnt vmcnt(0)
	v_mul_f64 v[12:13], v[90:91], v[16:17]
	scratch_store_b128 off, v[14:17], off offset:328 ; 16-byte Folded Spill
	s_waitcnt_vscnt null, 0x0
	s_barrier
	buffer_gl0_inv
	v_fma_f64 v[80:81], v[88:89], v[14:15], -v[12:13]
	v_mul_f64 v[12:13], v[88:89], v[16:17]
	s_delay_alu instid0(VALU_DEP_1) | instskip(SKIP_2) | instid1(VALU_DEP_1)
	v_fma_f64 v[82:83], v[90:91], v[14:15], v[12:13]
	v_add_f64 v[12:13], v[126:127], -v[128:129]
	v_add_f64 v[14:15], v[138:139], -v[132:133]
	v_add_f64 v[12:13], v[12:13], v[14:15]
	v_add_f64 v[14:15], v[124:125], -v[130:131]
	s_delay_alu instid0(VALU_DEP_1) | instskip(SKIP_1) | instid1(VALU_DEP_1)
	v_add_f64 v[14:15], v[14:15], v[84:85]
	v_add_f64 v[84:85], v[128:129], v[132:133]
	v_fma_f64 v[88:89], v[84:85], -0.5, v[56:57]
	v_add_f64 v[84:85], v[130:131], v[134:135]
	s_delay_alu instid0(VALU_DEP_1) | instskip(NEXT) | instid1(VALU_DEP_3)
	v_fma_f64 v[90:91], v[84:85], -0.5, v[58:59]
	v_fma_f64 v[84:85], v[147:148], s[10:11], v[88:89]
	v_fma_f64 v[88:89], v[147:148], s[16:17], v[88:89]
	s_delay_alu instid0(VALU_DEP_3) | instskip(SKIP_1) | instid1(VALU_DEP_4)
	v_fma_f64 v[86:87], v[151:152], s[16:17], v[90:91]
	v_fma_f64 v[90:91], v[151:152], s[10:11], v[90:91]
	;; [unrolled: 1-line block ×3, first 2 shown]
	s_delay_alu instid0(VALU_DEP_4) | instskip(NEXT) | instid1(VALU_DEP_4)
	v_fma_f64 v[88:89], v[149:150], s[18:19], v[88:89]
	v_fma_f64 v[86:87], v[153:154], s[18:19], v[86:87]
	s_delay_alu instid0(VALU_DEP_4) | instskip(NEXT) | instid1(VALU_DEP_4)
	v_fma_f64 v[90:91], v[153:154], s[8:9], v[90:91]
	v_fma_f64 v[84:85], v[12:13], s[20:21], v[84:85]
	s_delay_alu instid0(VALU_DEP_4) | instskip(SKIP_4) | instid1(VALU_DEP_4)
	v_fma_f64 v[88:89], v[12:13], s[20:21], v[88:89]
	v_add_f64 v[12:13], v[126:127], v[138:139]
	v_fma_f64 v[86:87], v[14:15], s[20:21], v[86:87]
	v_fma_f64 v[90:91], v[14:15], s[20:21], v[90:91]
	v_add_f64 v[14:15], v[124:125], v[136:137]
	v_fma_f64 v[12:13], v[12:13], -0.5, v[56:57]
	v_add_f64 v[56:57], v[56:57], v[126:127]
	v_add_f64 v[126:127], v[128:129], -v[126:127]
	s_delay_alu instid0(VALU_DEP_4) | instskip(SKIP_4) | instid1(VALU_DEP_4)
	v_fma_f64 v[14:15], v[14:15], -0.5, v[58:59]
	v_add_f64 v[58:59], v[58:59], v[124:125]
	v_add_f64 v[124:125], v[130:131], -v[124:125]
	v_add_f64 v[56:57], v[56:57], v[128:129]
	v_add_f64 v[128:129], v[132:133], -v[138:139]
	;; [unrolled: 2-line block ×3, first 2 shown]
	s_delay_alu instid0(VALU_DEP_4)
	v_add_f64 v[56:57], v[56:57], v[132:133]
	v_fma_f64 v[132:133], v[149:150], s[16:17], v[12:13]
	v_fma_f64 v[12:13], v[149:150], s[10:11], v[12:13]
	v_add_f64 v[128:129], v[126:127], v[128:129]
	v_add_f64 v[149:150], v[114:115], -v[118:119]
	v_add_f64 v[58:59], v[58:59], v[134:135]
	v_fma_f64 v[134:135], v[153:154], s[10:11], v[14:15]
	v_fma_f64 v[14:15], v[153:154], s[16:17], v[14:15]
	v_add_f64 v[130:131], v[124:125], v[130:131]
	v_fma_f64 v[124:125], v[147:148], s[8:9], v[132:133]
	v_fma_f64 v[12:13], v[147:148], s[18:19], v[12:13]
	v_add_f64 v[56:57], v[56:57], v[138:139]
	v_add_f64 v[147:148], v[110:111], -v[122:123]
	v_add_f64 v[138:139], v[116:117], -v[112:113]
	v_add_f64 v[58:59], v[58:59], v[136:137]
	v_fma_f64 v[126:127], v[151:152], s[18:19], v[134:135]
	v_fma_f64 v[14:15], v[151:152], s[8:9], v[14:15]
	v_add_f64 v[136:137], v[108:109], -v[120:121]
	v_fma_f64 v[124:125], v[128:129], s[20:21], v[124:125]
	v_fma_f64 v[128:129], v[128:129], s[20:21], v[12:13]
	v_and_b32_e32 v12, 0xffff, v142
	v_add_f64 v[151:152], v[10:11], -v[82:83]
	s_delay_alu instid0(VALU_DEP_2) | instskip(NEXT) | instid1(VALU_DEP_1)
	v_mul_u32_u24_e32 v12, 0x55, v12
	v_add_nc_u32_e32 v12, v12, v145
	s_delay_alu instid0(VALU_DEP_1)
	v_add_lshl_u32 v73, v204, v12, 4
	v_add_f64 v[12:13], v[110:111], -v[114:115]
	ds_store_b128 v73, v[56:59]
	v_fma_f64 v[126:127], v[130:131], s[20:21], v[126:127]
	v_fma_f64 v[130:131], v[130:131], s[20:21], v[14:15]
	v_add_f64 v[14:15], v[122:123], -v[118:119]
	v_add_f64 v[56:57], v[120:121], -v[112:113]
	s_delay_alu instid0(VALU_DEP_2) | instskip(SKIP_1) | instid1(VALU_DEP_1)
	v_add_f64 v[12:13], v[12:13], v[14:15]
	v_add_f64 v[14:15], v[108:109], -v[116:117]
	v_add_f64 v[14:15], v[14:15], v[56:57]
	v_add_f64 v[56:57], v[114:115], v[118:119]
	s_delay_alu instid0(VALU_DEP_1) | instskip(SKIP_1) | instid1(VALU_DEP_1)
	v_fma_f64 v[132:133], v[56:57], -0.5, v[48:49]
	v_add_f64 v[56:57], v[116:117], v[112:113]
	v_fma_f64 v[134:135], v[56:57], -0.5, v[50:51]
	s_delay_alu instid0(VALU_DEP_3) | instskip(SKIP_1) | instid1(VALU_DEP_3)
	v_fma_f64 v[56:57], v[136:137], s[10:11], v[132:133]
	v_fma_f64 v[132:133], v[136:137], s[16:17], v[132:133]
	;; [unrolled: 1-line block ×4, first 2 shown]
	s_delay_alu instid0(VALU_DEP_4) | instskip(NEXT) | instid1(VALU_DEP_4)
	v_fma_f64 v[56:57], v[138:139], s[8:9], v[56:57]
	v_fma_f64 v[132:133], v[138:139], s[18:19], v[132:133]
	s_delay_alu instid0(VALU_DEP_4) | instskip(NEXT) | instid1(VALU_DEP_4)
	v_fma_f64 v[58:59], v[149:150], s[18:19], v[58:59]
	v_fma_f64 v[134:135], v[149:150], s[8:9], v[134:135]
	;; [unrolled: 3-line block ×3, first 2 shown]
	v_add_f64 v[12:13], v[110:111], v[122:123]
	v_fma_f64 v[58:59], v[14:15], s[20:21], v[58:59]
	v_fma_f64 v[134:135], v[14:15], s[20:21], v[134:135]
	v_add_f64 v[14:15], v[108:109], v[120:121]
	s_delay_alu instid0(VALU_DEP_4) | instskip(SKIP_2) | instid1(VALU_DEP_4)
	v_fma_f64 v[12:13], v[12:13], -0.5, v[48:49]
	v_add_f64 v[48:49], v[48:49], v[110:111]
	v_add_f64 v[110:111], v[114:115], -v[110:111]
	v_fma_f64 v[14:15], v[14:15], -0.5, v[50:51]
	v_add_f64 v[50:51], v[50:51], v[108:109]
	v_add_f64 v[108:109], v[116:117], -v[108:109]
	v_add_f64 v[48:49], v[48:49], v[114:115]
	v_add_f64 v[114:115], v[118:119], -v[122:123]
	s_delay_alu instid0(VALU_DEP_4) | instskip(SKIP_1) | instid1(VALU_DEP_4)
	v_add_f64 v[50:51], v[50:51], v[116:117]
	v_fma_f64 v[116:117], v[138:139], s[16:17], v[12:13]
	v_add_f64 v[48:49], v[48:49], v[118:119]
	v_fma_f64 v[12:13], v[138:139], s[10:11], v[12:13]
	v_fma_f64 v[118:119], v[149:150], s[10:11], v[14:15]
	;; [unrolled: 1-line block ×3, first 2 shown]
	v_add_f64 v[114:115], v[110:111], v[114:115]
	v_add_f64 v[138:139], v[100:101], -v[96:97]
	v_add_f64 v[149:150], v[98:99], -v[102:103]
	v_add_f64 v[50:51], v[50:51], v[112:113]
	v_add_f64 v[112:113], v[112:113], -v[120:121]
	v_add_f64 v[48:49], v[48:49], v[122:123]
	v_fma_f64 v[12:13], v[136:137], s[18:19], v[12:13]
	v_fma_f64 v[110:111], v[147:148], s[18:19], v[118:119]
	;; [unrolled: 1-line block ×3, first 2 shown]
	v_add_f64 v[147:148], v[94:95], -v[104:105]
	v_add_f64 v[50:51], v[50:51], v[120:121]
	v_add_f64 v[120:121], v[108:109], v[112:113]
	v_fma_f64 v[108:109], v[136:137], s[8:9], v[116:117]
	v_fma_f64 v[112:113], v[114:115], s[20:21], v[12:13]
	v_add_f64 v[12:13], v[94:95], -v[98:99]
	v_add_f64 v[116:117], v[106:107], -v[96:97]
	;; [unrolled: 1-line block ×3, first 2 shown]
	v_fma_f64 v[110:111], v[120:121], s[20:21], v[110:111]
	v_fma_f64 v[108:109], v[114:115], s[20:21], v[108:109]
	;; [unrolled: 1-line block ×3, first 2 shown]
	v_add_f64 v[14:15], v[104:105], -v[102:103]
	s_delay_alu instid0(VALU_DEP_1) | instskip(SKIP_1) | instid1(VALU_DEP_1)
	v_add_f64 v[12:13], v[12:13], v[14:15]
	v_add_f64 v[14:15], v[92:93], -v[100:101]
	v_add_f64 v[14:15], v[14:15], v[116:117]
	v_add_f64 v[116:117], v[98:99], v[102:103]
	s_delay_alu instid0(VALU_DEP_1) | instskip(SKIP_1) | instid1(VALU_DEP_1)
	v_fma_f64 v[120:121], v[116:117], -0.5, v[40:41]
	v_add_f64 v[116:117], v[100:101], v[96:97]
	v_fma_f64 v[122:123], v[116:117], -0.5, v[42:43]
	s_delay_alu instid0(VALU_DEP_3) | instskip(SKIP_1) | instid1(VALU_DEP_3)
	v_fma_f64 v[116:117], v[136:137], s[10:11], v[120:121]
	v_fma_f64 v[120:121], v[136:137], s[16:17], v[120:121]
	;; [unrolled: 1-line block ×4, first 2 shown]
	s_delay_alu instid0(VALU_DEP_4) | instskip(NEXT) | instid1(VALU_DEP_4)
	v_fma_f64 v[116:117], v[138:139], s[8:9], v[116:117]
	v_fma_f64 v[120:121], v[138:139], s[18:19], v[120:121]
	s_delay_alu instid0(VALU_DEP_4) | instskip(NEXT) | instid1(VALU_DEP_4)
	v_fma_f64 v[118:119], v[149:150], s[18:19], v[118:119]
	v_fma_f64 v[122:123], v[149:150], s[8:9], v[122:123]
	s_delay_alu instid0(VALU_DEP_4) | instskip(NEXT) | instid1(VALU_DEP_4)
	v_fma_f64 v[116:117], v[12:13], s[20:21], v[116:117]
	v_fma_f64 v[120:121], v[12:13], s[20:21], v[120:121]
	v_add_f64 v[12:13], v[94:95], v[104:105]
	v_fma_f64 v[118:119], v[14:15], s[20:21], v[118:119]
	v_fma_f64 v[122:123], v[14:15], s[20:21], v[122:123]
	v_add_f64 v[14:15], v[92:93], v[106:107]
	s_delay_alu instid0(VALU_DEP_4) | instskip(SKIP_2) | instid1(VALU_DEP_4)
	v_fma_f64 v[12:13], v[12:13], -0.5, v[40:41]
	v_add_f64 v[40:41], v[40:41], v[94:95]
	v_add_f64 v[94:95], v[98:99], -v[94:95]
	v_fma_f64 v[14:15], v[14:15], -0.5, v[42:43]
	v_add_f64 v[42:43], v[42:43], v[92:93]
	v_add_f64 v[92:93], v[100:101], -v[92:93]
	v_add_f64 v[40:41], v[40:41], v[98:99]
	v_add_f64 v[98:99], v[102:103], -v[104:105]
	s_delay_alu instid0(VALU_DEP_4) | instskip(SKIP_1) | instid1(VALU_DEP_4)
	v_add_f64 v[42:43], v[42:43], v[100:101]
	v_fma_f64 v[100:101], v[138:139], s[16:17], v[12:13]
	v_add_f64 v[40:41], v[40:41], v[102:103]
	v_fma_f64 v[12:13], v[138:139], s[10:11], v[12:13]
	v_fma_f64 v[102:103], v[149:150], s[10:11], v[14:15]
	;; [unrolled: 1-line block ×3, first 2 shown]
	v_add_f64 v[98:99], v[94:95], v[98:99]
	v_add_f64 v[149:150], v[2:3], -v[6:7]
	v_add_f64 v[42:43], v[42:43], v[96:97]
	v_add_f64 v[96:97], v[96:97], -v[106:107]
	v_add_f64 v[40:41], v[40:41], v[104:105]
	v_fma_f64 v[12:13], v[136:137], s[18:19], v[12:13]
	v_fma_f64 v[94:95], v[147:148], s[18:19], v[102:103]
	;; [unrolled: 1-line block ×3, first 2 shown]
	v_add_f64 v[102:103], v[4:5], v[10:11]
	v_add_f64 v[147:148], v[0:1], -v[80:81]
	v_add_f64 v[42:43], v[42:43], v[106:107]
	v_add_f64 v[104:105], v[92:93], v[96:97]
	v_fma_f64 v[92:93], v[136:137], s[8:9], v[100:101]
	v_fma_f64 v[96:97], v[98:99], s[20:21], v[12:13]
	v_add_f64 v[12:13], v[0:1], -v[2:3]
	v_add_f64 v[100:101], v[82:83], -v[10:11]
	v_fma_f64 v[102:103], v[102:103], -0.5, v[38:39]
	v_add_f64 v[106:107], v[4:5], -v[10:11]
	v_fma_f64 v[94:95], v[104:105], s[20:21], v[94:95]
	v_fma_f64 v[92:93], v[98:99], s[20:21], v[92:93]
	;; [unrolled: 1-line block ×3, first 2 shown]
	v_add_f64 v[14:15], v[80:81], -v[6:7]
	v_add_f64 v[104:105], v[8:9], -v[82:83]
	v_fma_f64 v[138:139], v[147:148], s[16:17], v[102:103]
	v_fma_f64 v[102:103], v[147:148], s[10:11], v[102:103]
	s_delay_alu instid0(VALU_DEP_4) | instskip(SKIP_1) | instid1(VALU_DEP_4)
	v_add_f64 v[12:13], v[12:13], v[14:15]
	v_add_f64 v[14:15], v[8:9], -v[4:5]
	v_fma_f64 v[138:139], v[149:150], s[18:19], v[138:139]
	s_delay_alu instid0(VALU_DEP_4) | instskip(NEXT) | instid1(VALU_DEP_3)
	v_fma_f64 v[102:103], v[149:150], s[8:9], v[102:103]
	v_add_f64 v[14:15], v[14:15], v[100:101]
	v_add_f64 v[100:101], v[2:3], v[6:7]
	s_delay_alu instid0(VALU_DEP_2) | instskip(NEXT) | instid1(VALU_DEP_2)
	v_fma_f64 v[138:139], v[14:15], s[20:21], v[138:139]
	v_fma_f64 v[100:101], v[100:101], -0.5, v[36:37]
	v_fma_f64 v[14:15], v[14:15], s[20:21], v[102:103]
	v_add_f64 v[102:103], v[8:9], v[82:83]
	s_delay_alu instid0(VALU_DEP_3) | instskip(SKIP_1) | instid1(VALU_DEP_3)
	v_fma_f64 v[136:137], v[104:105], s[10:11], v[100:101]
	v_fma_f64 v[100:101], v[104:105], s[16:17], v[100:101]
	v_fma_f64 v[102:103], v[102:103], -0.5, v[38:39]
	s_delay_alu instid0(VALU_DEP_3) | instskip(NEXT) | instid1(VALU_DEP_3)
	v_fma_f64 v[136:137], v[106:107], s[8:9], v[136:137]
	v_fma_f64 v[100:101], v[106:107], s[18:19], v[100:101]
	s_delay_alu instid0(VALU_DEP_2) | instskip(NEXT) | instid1(VALU_DEP_2)
	v_fma_f64 v[136:137], v[12:13], s[20:21], v[136:137]
	v_fma_f64 v[12:13], v[12:13], s[20:21], v[100:101]
	scratch_store_b128 off, v[12:15], off   ; 16-byte Folded Spill
	v_add_f64 v[12:13], v[2:3], -v[0:1]
	v_add_f64 v[14:15], v[6:7], -v[80:81]
	s_delay_alu instid0(VALU_DEP_1) | instskip(SKIP_1) | instid1(VALU_DEP_1)
	v_add_f64 v[12:13], v[12:13], v[14:15]
	v_add_f64 v[14:15], v[0:1], v[80:81]
	v_fma_f64 v[14:15], v[14:15], -0.5, v[36:37]
	s_delay_alu instid0(VALU_DEP_1)
	v_fma_f64 v[100:101], v[106:107], s[16:17], v[14:15]
	v_fma_f64 v[14:15], v[106:107], s[10:11], v[14:15]
	;; [unrolled: 1-line block ×4, first 2 shown]
	v_add_f64 v[149:150], v[4:5], -v[8:9]
	v_fma_f64 v[100:101], v[104:105], s[8:9], v[100:101]
	v_fma_f64 v[14:15], v[104:105], s[18:19], v[14:15]
	;; [unrolled: 1-line block ×4, first 2 shown]
	v_add_f64 v[149:150], v[149:150], v[151:152]
	v_fma_f64 v[16:17], v[12:13], s[20:21], v[100:101]
	v_fma_f64 v[100:101], v[12:13], s[20:21], v[14:15]
	v_and_b32_e32 v12, 0xffff, v140
	s_delay_alu instid0(VALU_DEP_4) | instskip(SKIP_1) | instid1(VALU_DEP_3)
	v_fma_f64 v[18:19], v[149:150], s[20:21], v[104:105]
	v_fma_f64 v[102:103], v[149:150], s[20:21], v[102:103]
	v_mul_u32_u24_e32 v12, 0x55, v12
	s_delay_alu instid0(VALU_DEP_1) | instskip(NEXT) | instid1(VALU_DEP_1)
	v_add_nc_u32_e32 v12, v12, v141
	v_add_lshl_u32 v79, v204, v12, 4
	v_and_b32_e32 v12, 0xffff, v143
	s_delay_alu instid0(VALU_DEP_1) | instskip(NEXT) | instid1(VALU_DEP_1)
	v_mul_u32_u24_e32 v12, 0x55, v12
	v_add_nc_u32_e32 v12, v12, v144
	s_delay_alu instid0(VALU_DEP_1)
	v_add_lshl_u32 v78, v204, v12, 4
	scratch_store_b128 off, v[16:19], off offset:16 ; 16-byte Folded Spill
	ds_store_b128 v73, v[84:87] offset:272
	ds_store_b128 v73, v[124:127] offset:544
	;; [unrolled: 1-line block ×4, first 2 shown]
	ds_store_b128 v79, v[48:51]
	ds_store_b128 v79, v[56:59] offset:272
	ds_store_b128 v79, v[108:111] offset:544
	;; [unrolled: 1-line block ×4, first 2 shown]
	ds_store_b128 v78, v[40:43]
	ds_store_b128 v78, v[116:119] offset:272
	ds_store_b128 v78, v[92:95] offset:544
	;; [unrolled: 1-line block ×4, first 2 shown]
	s_and_saveexec_b32 s1, s0
	s_cbranch_execz .LBB0_11
; %bb.10:
	v_add_f64 v[8:9], v[38:39], v[8:9]
	v_add_f64 v[0:1], v[36:37], v[0:1]
	s_delay_alu instid0(VALU_DEP_2) | instskip(NEXT) | instid1(VALU_DEP_2)
	v_add_f64 v[4:5], v[8:9], v[4:5]
	v_add_f64 v[0:1], v[0:1], v[2:3]
	s_delay_alu instid0(VALU_DEP_2) | instskip(NEXT) | instid1(VALU_DEP_2)
	v_add_f64 v[2:3], v[4:5], v[10:11]
	v_add_f64 v[0:1], v[0:1], v[6:7]
	scratch_load_b128 v[5:8], off, off offset:16 ; 16-byte Folded Reload
	v_add_lshl_u32 v4, v204, v72, 4
	v_add_f64 v[2:3], v[2:3], v[82:83]
	v_add_f64 v[0:1], v[0:1], v[80:81]
	s_waitcnt vmcnt(0)
	ds_store_b128 v4, v[5:8] offset:20944
	ds_store_b128 v4, v[100:103] offset:21216
	;; [unrolled: 1-line block ×4, first 2 shown]
	scratch_load_b128 v[0:3], off, off      ; 16-byte Folded Reload
	s_waitcnt vmcnt(0)
	ds_store_b128 v4, v[0:3] offset:21488
.LBB0_11:
	s_or_b32 exec_lo, exec_lo, s1
	v_mad_u64_u32 v[8:9], null, 0xf0, v224, s[2:3]
	s_waitcnt lgkmcnt(0)
	s_waitcnt_vscnt null, 0x0
	s_barrier
	buffer_gl0_inv
	s_mov_b32 s2, 0x667f3bcd
	s_mov_b32 s3, 0xbfe6a09e
	;; [unrolled: 1-line block ×3, first 2 shown]
	s_clause 0x3
	global_load_b128 v[48:51], v[8:9], off offset:1088
	global_load_b128 v[38:41], v[8:9], off offset:1104
	;; [unrolled: 1-line block ×4, first 2 shown]
	ds_load_b128 v[0:3], v255 offset:1360
	ds_load_b128 v[4:7], v255 offset:2720
	s_mov_b32 s8, s2
	s_mov_b32 s10, 0xcf328d46
	;; [unrolled: 1-line block ×9, first 2 shown]
	s_waitcnt vmcnt(3) lgkmcnt(1)
	v_mul_f64 v[10:11], v[2:3], v[50:51]
	v_mul_f64 v[12:13], v[0:1], v[50:51]
	s_waitcnt vmcnt(2) lgkmcnt(0)
	v_mul_f64 v[14:15], v[6:7], v[40:41]
	v_mul_f64 v[80:81], v[4:5], v[40:41]
	s_waitcnt vmcnt(1)
	scratch_store_b128 off, v[34:37], off offset:80 ; 16-byte Folded Spill
	s_waitcnt vmcnt(0)
	s_clause 0x2
	scratch_store_b128 off, v[16:19], off offset:64
	scratch_store_b128 off, v[48:51], off offset:112
	;; [unrolled: 1-line block ×3, first 2 shown]
	v_fma_f64 v[10:11], v[0:1], v[48:49], -v[10:11]
	v_fma_f64 v[12:13], v[2:3], v[48:49], v[12:13]
	ds_load_b128 v[0:3], v255 offset:4080
	v_fma_f64 v[4:5], v[4:5], v[38:39], -v[14:15]
	v_fma_f64 v[6:7], v[6:7], v[38:39], v[80:81]
	s_waitcnt lgkmcnt(0)
	v_mul_f64 v[14:15], v[2:3], v[36:37]
	v_mul_f64 v[80:81], v[0:1], v[36:37]
	s_delay_alu instid0(VALU_DEP_2) | instskip(NEXT) | instid1(VALU_DEP_2)
	v_fma_f64 v[14:15], v[0:1], v[34:35], -v[14:15]
	v_fma_f64 v[80:81], v[2:3], v[34:35], v[80:81]
	ds_load_b128 v[0:3], v255 offset:5440
	s_waitcnt lgkmcnt(0)
	v_mul_f64 v[82:83], v[2:3], v[18:19]
	s_delay_alu instid0(VALU_DEP_1) | instskip(SKIP_1) | instid1(VALU_DEP_1)
	v_fma_f64 v[82:83], v[0:1], v[16:17], -v[82:83]
	v_mul_f64 v[0:1], v[0:1], v[18:19]
	v_fma_f64 v[84:85], v[2:3], v[16:17], v[0:1]
	global_load_b128 v[16:19], v[8:9], off offset:1152
	ds_load_b128 v[0:3], v255 offset:6800
	s_waitcnt vmcnt(0) lgkmcnt(0)
	v_mul_f64 v[86:87], v[2:3], v[18:19]
	scratch_store_b128 off, v[16:19], off offset:160 ; 16-byte Folded Spill
	v_fma_f64 v[86:87], v[0:1], v[16:17], -v[86:87]
	v_mul_f64 v[0:1], v[0:1], v[18:19]
	s_delay_alu instid0(VALU_DEP_1)
	v_fma_f64 v[88:89], v[2:3], v[16:17], v[0:1]
	global_load_b128 v[16:19], v[8:9], off offset:1168
	ds_load_b128 v[0:3], v255 offset:8160
	s_waitcnt vmcnt(0) lgkmcnt(0)
	v_mul_f64 v[90:91], v[2:3], v[18:19]
	scratch_store_b128 off, v[16:19], off offset:176 ; 16-byte Folded Spill
	v_fma_f64 v[90:91], v[0:1], v[16:17], -v[90:91]
	v_mul_f64 v[0:1], v[0:1], v[18:19]
	s_delay_alu instid0(VALU_DEP_1)
	;; [unrolled: 9-line block ×4, first 2 shown]
	v_fma_f64 v[148:149], v[2:3], v[16:17], v[0:1]
	global_load_b128 v[16:19], v[8:9], off offset:1264
	ds_load_b128 v[0:3], v255 offset:16320
	s_waitcnt vmcnt(0) lgkmcnt(0)
	v_mul_f64 v[112:113], v[2:3], v[18:19]
	scratch_store_b128 off, v[16:19], off offset:224 ; 16-byte Folded Spill
	v_fma_f64 v[150:151], v[0:1], v[16:17], -v[112:113]
	v_mul_f64 v[0:1], v[0:1], v[18:19]
	s_delay_alu instid0(VALU_DEP_2) | instskip(NEXT) | instid1(VALU_DEP_2)
	v_add_f64 v[150:151], v[82:83], -v[150:151]
	v_fma_f64 v[152:153], v[2:3], v[16:17], v[0:1]
	global_load_b128 v[16:19], v[8:9], off offset:1232
	ds_load_b128 v[0:3], v255 offset:13600
	v_fma_f64 v[82:83], v[82:83], 2.0, -v[150:151]
	v_add_f64 v[176:177], v[84:85], -v[152:153]
	s_delay_alu instid0(VALU_DEP_1)
	v_fma_f64 v[84:85], v[84:85], 2.0, -v[176:177]
	s_waitcnt vmcnt(0) lgkmcnt(0)
	v_mul_f64 v[116:117], v[2:3], v[18:19]
	scratch_store_b128 off, v[16:19], off offset:240 ; 16-byte Folded Spill
	v_fma_f64 v[154:155], v[0:1], v[16:17], -v[116:117]
	v_mul_f64 v[0:1], v[0:1], v[18:19]
	s_delay_alu instid0(VALU_DEP_2) | instskip(NEXT) | instid1(VALU_DEP_2)
	v_add_f64 v[178:179], v[4:5], -v[154:155]
	v_fma_f64 v[156:157], v[2:3], v[16:17], v[0:1]
	global_load_b128 v[16:19], v[8:9], off offset:1296
	ds_load_b128 v[0:3], v255 offset:19040
	v_fma_f64 v[4:5], v[4:5], 2.0, -v[178:179]
	v_add_f64 v[180:181], v[6:7], -v[156:157]
	s_delay_alu instid0(VALU_DEP_1)
	v_fma_f64 v[6:7], v[6:7], 2.0, -v[180:181]
	s_waitcnt vmcnt(0) lgkmcnt(0)
	v_mul_f64 v[120:121], v[2:3], v[18:19]
	scratch_store_b128 off, v[16:19], off offset:256 ; 16-byte Folded Spill
	v_fma_f64 v[158:159], v[0:1], v[16:17], -v[120:121]
	global_load_b128 v[120:123], v[8:9], off offset:1216
	v_mul_f64 v[0:1], v[0:1], v[18:19]
	v_add_f64 v[156:157], v[90:91], -v[158:159]
	s_delay_alu instid0(VALU_DEP_2) | instskip(SKIP_3) | instid1(VALU_DEP_2)
	v_fma_f64 v[160:161], v[2:3], v[16:17], v[0:1]
	ds_load_b128 v[0:3], v255 offset:12240
	v_fma_f64 v[90:91], v[90:91], 2.0, -v[156:157]
	v_add_f64 v[158:159], v[140:141], -v[160:161]
	v_add_f64 v[90:91], v[4:5], -v[90:91]
	s_delay_alu instid0(VALU_DEP_2) | instskip(NEXT) | instid1(VALU_DEP_2)
	v_fma_f64 v[140:141], v[140:141], 2.0, -v[158:159]
	v_fma_f64 v[4:5], v[4:5], 2.0, -v[90:91]
	s_delay_alu instid0(VALU_DEP_2) | instskip(NEXT) | instid1(VALU_DEP_1)
	v_add_f64 v[140:141], v[6:7], -v[140:141]
	v_fma_f64 v[6:7], v[6:7], 2.0, -v[140:141]
	s_waitcnt vmcnt(0) lgkmcnt(0)
	v_mul_f64 v[124:125], v[2:3], v[122:123]
	s_delay_alu instid0(VALU_DEP_1) | instskip(SKIP_3) | instid1(VALU_DEP_2)
	v_fma_f64 v[162:163], v[0:1], v[120:121], -v[124:125]
	global_load_b128 v[124:127], v[8:9], off offset:1280
	v_mul_f64 v[0:1], v[0:1], v[122:123]
	v_add_f64 v[160:161], v[10:11], -v[162:163]
	v_fma_f64 v[164:165], v[2:3], v[120:121], v[0:1]
	ds_load_b128 v[0:3], v255 offset:17680
	v_fma_f64 v[10:11], v[10:11], 2.0, -v[160:161]
	v_add_f64 v[162:163], v[12:13], -v[164:165]
	s_delay_alu instid0(VALU_DEP_1) | instskip(SKIP_2) | instid1(VALU_DEP_1)
	v_fma_f64 v[12:13], v[12:13], 2.0, -v[162:163]
	s_waitcnt vmcnt(0) lgkmcnt(0)
	v_mul_f64 v[128:129], v[2:3], v[126:127]
	v_fma_f64 v[166:167], v[0:1], v[124:125], -v[128:129]
	global_load_b128 v[128:131], v[8:9], off offset:1248
	v_mul_f64 v[0:1], v[0:1], v[126:127]
	v_add_f64 v[182:183], v[86:87], -v[166:167]
	s_delay_alu instid0(VALU_DEP_2) | instskip(SKIP_4) | instid1(VALU_DEP_3)
	v_fma_f64 v[168:169], v[2:3], v[124:125], v[0:1]
	ds_load_b128 v[0:3], v255 offset:14960
	v_fma_f64 v[86:87], v[86:87], 2.0, -v[182:183]
	v_add_f64 v[182:183], v[162:163], v[182:183]
	v_add_f64 v[168:169], v[88:89], -v[168:169]
	v_add_f64 v[86:87], v[10:11], -v[86:87]
	s_delay_alu instid0(VALU_DEP_2) | instskip(SKIP_1) | instid1(VALU_DEP_2)
	v_fma_f64 v[88:89], v[88:89], 2.0, -v[168:169]
	v_add_f64 v[192:193], v[160:161], -v[168:169]
	v_add_f64 v[88:89], v[12:13], -v[88:89]
	s_delay_alu instid0(VALU_DEP_2) | instskip(SKIP_2) | instid1(VALU_DEP_1)
	v_fma_f64 v[160:161], v[160:161], 2.0, -v[192:193]
	s_waitcnt vmcnt(0) lgkmcnt(0)
	v_mul_f64 v[132:133], v[2:3], v[130:131]
	v_fma_f64 v[170:171], v[0:1], v[128:129], -v[132:133]
	global_load_b128 v[132:135], v[8:9], off offset:1312
	v_mul_f64 v[0:1], v[0:1], v[130:131]
	v_add_f64 v[184:185], v[14:15], -v[170:171]
	s_delay_alu instid0(VALU_DEP_2) | instskip(SKIP_3) | instid1(VALU_DEP_1)
	v_fma_f64 v[172:173], v[2:3], v[128:129], v[0:1]
	ds_load_b128 v[0:3], v255 offset:20400
	v_fma_f64 v[14:15], v[14:15], 2.0, -v[184:185]
	v_add_f64 v[172:173], v[80:81], -v[172:173]
	v_fma_f64 v[80:81], v[80:81], 2.0, -v[172:173]
	s_waitcnt vmcnt(0) lgkmcnt(0)
	v_mul_f64 v[8:9], v[0:1], v[134:135]
	s_delay_alu instid0(VALU_DEP_1) | instskip(SKIP_1) | instid1(VALU_DEP_2)
	v_fma_f64 v[8:9], v[2:3], v[132:133], v[8:9]
	v_mul_f64 v[2:3], v[2:3], v[134:135]
	v_add_f64 v[8:9], v[144:145], -v[8:9]
	s_delay_alu instid0(VALU_DEP_2)
	v_fma_f64 v[174:175], v[0:1], v[132:133], -v[2:3]
	ds_load_b128 v[0:3], v255
	s_waitcnt lgkmcnt(0)
	v_add_f64 v[148:149], v[2:3], -v[148:149]
	v_add_f64 v[146:147], v[0:1], -v[146:147]
	v_fma_f64 v[144:145], v[144:145], 2.0, -v[8:9]
	v_add_f64 v[170:171], v[142:143], -v[174:175]
	v_add_f64 v[8:9], v[184:185], -v[8:9]
	v_fma_f64 v[2:3], v[2:3], 2.0, -v[148:149]
	v_fma_f64 v[0:1], v[0:1], 2.0, -v[146:147]
	v_add_f64 v[150:151], v[148:149], v[150:151]
	v_add_f64 v[144:145], v[80:81], -v[144:145]
	v_fma_f64 v[142:143], v[142:143], 2.0, -v[170:171]
	v_add_f64 v[194:195], v[172:173], v[170:171]
	v_add_f64 v[84:85], v[2:3], -v[84:85]
	v_add_f64 v[82:83], v[0:1], -v[82:83]
	v_fma_f64 v[148:149], v[148:149], 2.0, -v[150:151]
	v_add_f64 v[164:165], v[86:87], -v[144:145]
	v_add_f64 v[142:143], v[14:15], -v[142:143]
	v_add_f64 v[188:189], v[84:85], v[90:91]
	v_add_f64 v[186:187], v[82:83], -v[140:141]
	v_fma_f64 v[0:1], v[0:1], 2.0, -v[82:83]
	v_fma_f64 v[2:3], v[2:3], 2.0, -v[84:85]
	;; [unrolled: 1-line block ×3, first 2 shown]
	v_add_f64 v[166:167], v[88:89], v[142:143]
	v_fma_f64 v[202:203], v[84:85], 2.0, -v[188:189]
	v_fma_f64 v[152:153], v[164:165], s[8:9], v[186:187]
	v_fma_f64 v[200:201], v[82:83], 2.0, -v[186:187]
	v_add_f64 v[4:5], v[0:1], -v[4:5]
	v_add_f64 v[6:7], v[2:3], -v[6:7]
	v_fma_f64 v[154:155], v[166:167], s[8:9], v[188:189]
	v_fma_f64 v[152:153], v[166:167], s[2:3], v[152:153]
	s_delay_alu instid0(VALU_DEP_4) | instskip(NEXT) | instid1(VALU_DEP_4)
	v_fma_f64 v[0:1], v[0:1], 2.0, -v[4:5]
	v_fma_f64 v[2:3], v[2:3], 2.0, -v[6:7]
	s_delay_alu instid0(VALU_DEP_4) | instskip(SKIP_2) | instid1(VALU_DEP_2)
	v_fma_f64 v[154:155], v[164:165], s[8:9], v[154:155]
	v_fma_f64 v[164:165], v[88:89], 2.0, -v[166:167]
	v_fma_f64 v[166:167], v[174:175], s[2:3], v[200:201]
	v_fma_f64 v[190:191], v[164:165], s[2:3], v[202:203]
	s_delay_alu instid0(VALU_DEP_2) | instskip(NEXT) | instid1(VALU_DEP_2)
	v_fma_f64 v[164:165], v[164:165], s[2:3], v[166:167]
	v_fma_f64 v[166:167], v[174:175], s[8:9], v[190:191]
	v_add_f64 v[174:175], v[146:147], -v[176:177]
	v_add_f64 v[176:177], v[178:179], -v[158:159]
	v_add_f64 v[190:191], v[180:181], v[156:157]
	s_delay_alu instid0(VALU_DEP_3) | instskip(NEXT) | instid1(VALU_DEP_3)
	v_fma_f64 v[146:147], v[146:147], 2.0, -v[174:175]
	v_fma_f64 v[156:157], v[176:177], s[8:9], v[174:175]
	s_delay_alu instid0(VALU_DEP_1) | instskip(SKIP_1) | instid1(VALU_DEP_2)
	v_fma_f64 v[204:205], v[190:191], s[2:3], v[156:157]
	v_fma_f64 v[156:157], v[190:191], s[8:9], v[150:151]
	v_fma_f64 v[212:213], v[174:175], 2.0, -v[204:205]
	s_delay_alu instid0(VALU_DEP_2) | instskip(SKIP_2) | instid1(VALU_DEP_3)
	v_fma_f64 v[206:207], v[176:177], s[8:9], v[156:157]
	v_fma_f64 v[156:157], v[8:9], s[8:9], v[192:193]
	v_fma_f64 v[174:175], v[180:181], 2.0, -v[190:191]
	v_fma_f64 v[214:215], v[150:151], 2.0, -v[206:207]
	s_delay_alu instid0(VALU_DEP_3)
	v_fma_f64 v[168:169], v[194:195], s[2:3], v[156:157]
	v_fma_f64 v[156:157], v[194:195], s[8:9], v[182:183]
	v_fma_f64 v[150:151], v[178:179], 2.0, -v[176:177]
	v_fma_f64 v[176:177], v[162:163], 2.0, -v[182:183]
	;; [unrolled: 1-line block ×5, first 2 shown]
	v_fma_f64 v[170:171], v[8:9], s[8:9], v[156:157]
	v_fma_f64 v[8:9], v[184:185], 2.0, -v[8:9]
	v_fma_f64 v[156:157], v[168:169], s[20:21], v[204:205]
	v_fma_f64 v[192:193], v[186:187], 2.0, -v[152:153]
	s_delay_alu instid0(VALU_DEP_4) | instskip(NEXT) | instid1(VALU_DEP_4)
	v_fma_f64 v[158:159], v[170:171], s[20:21], v[206:207]
	v_fma_f64 v[172:173], v[8:9], s[2:3], v[160:161]
	s_delay_alu instid0(VALU_DEP_4) | instskip(NEXT) | instid1(VALU_DEP_3)
	v_fma_f64 v[156:157], v[170:171], s[16:17], v[156:157]
	v_fma_f64 v[158:159], v[168:169], s[18:19], v[158:159]
	s_delay_alu instid0(VALU_DEP_3)
	v_fma_f64 v[172:173], v[162:163], s[2:3], v[172:173]
	v_fma_f64 v[162:163], v[162:163], s[2:3], v[176:177]
	v_fma_f64 v[168:169], v[182:183], 2.0, -v[170:171]
	v_fma_f64 v[170:171], v[196:197], s[16:17], v[212:213]
	v_fma_f64 v[204:205], v[204:205], 2.0, -v[156:157]
	v_fma_f64 v[182:183], v[202:203], 2.0, -v[166:167]
	;; [unrolled: 1-line block ×3, first 2 shown]
	v_fma_f64 v[8:9], v[8:9], s[8:9], v[162:163]
	v_fma_f64 v[162:163], v[174:175], s[2:3], v[148:149]
	;; [unrolled: 1-line block ×4, first 2 shown]
	s_delay_alu instid0(VALU_DEP_3) | instskip(SKIP_1) | instid1(VALU_DEP_4)
	v_fma_f64 v[178:179], v[150:151], s[8:9], v[162:163]
	v_fma_f64 v[150:151], v[150:151], s[2:3], v[146:147]
	;; [unrolled: 1-line block ×3, first 2 shown]
	s_delay_alu instid0(VALU_DEP_4)
	v_fma_f64 v[184:185], v[212:213], 2.0, -v[168:169]
	v_lshl_add_u32 v212, v224, 4, v230
	v_fma_f64 v[148:149], v[148:149], 2.0, -v[178:179]
	v_fma_f64 v[150:151], v[174:175], s[2:3], v[150:151]
	v_fma_f64 v[174:175], v[160:161], 2.0, -v[172:173]
	v_fma_f64 v[160:161], v[8:9], s[18:19], v[178:179]
	v_fma_f64 v[186:187], v[214:215], 2.0, -v[170:171]
	s_delay_alu instid0(VALU_DEP_4) | instskip(SKIP_1) | instid1(VALU_DEP_4)
	v_fma_f64 v[180:181], v[172:173], s[18:19], v[150:151]
	v_fma_f64 v[146:147], v[146:147], 2.0, -v[150:151]
	v_fma_f64 v[162:163], v[172:173], s[20:21], v[160:161]
	s_delay_alu instid0(VALU_DEP_3) | instskip(SKIP_1) | instid1(VALU_DEP_4)
	v_fma_f64 v[160:161], v[8:9], s[10:11], v[180:181]
	v_fma_f64 v[8:9], v[176:177], 2.0, -v[8:9]
	v_fma_f64 v[172:173], v[174:175], s[10:11], v[146:147]
	v_fma_f64 v[180:181], v[200:201], 2.0, -v[164:165]
	v_fma_f64 v[202:203], v[178:179], 2.0, -v[162:163]
	;; [unrolled: 1-line block ×3, first 2 shown]
	v_fma_f64 v[176:177], v[8:9], s[10:11], v[148:149]
	v_fma_f64 v[196:197], v[8:9], s[16:17], v[172:173]
	v_fma_f64 v[8:9], v[10:11], 2.0, -v[86:87]
	v_fma_f64 v[10:11], v[12:13], 2.0, -v[88:89]
	;; [unrolled: 1-line block ×4, first 2 shown]
	v_fma_f64 v[198:199], v[174:175], s[18:19], v[176:177]
	v_fma_f64 v[176:177], v[146:147], 2.0, -v[196:197]
	s_delay_alu instid0(VALU_DEP_4) | instskip(NEXT) | instid1(VALU_DEP_4)
	v_add_f64 v[12:13], v[8:9], -v[12:13]
	v_add_f64 v[14:15], v[10:11], -v[14:15]
	s_delay_alu instid0(VALU_DEP_4) | instskip(NEXT) | instid1(VALU_DEP_3)
	v_fma_f64 v[178:179], v[148:149], 2.0, -v[198:199]
	v_fma_f64 v[8:9], v[8:9], 2.0, -v[12:13]
	s_delay_alu instid0(VALU_DEP_3) | instskip(SKIP_2) | instid1(VALU_DEP_4)
	v_fma_f64 v[10:11], v[10:11], 2.0, -v[14:15]
	v_add_f64 v[172:173], v[4:5], -v[14:15]
	v_add_f64 v[174:175], v[6:7], v[12:13]
	v_add_f64 v[208:209], v[0:1], -v[8:9]
	s_delay_alu instid0(VALU_DEP_4) | instskip(NEXT) | instid1(VALU_DEP_4)
	v_add_f64 v[210:211], v[2:3], -v[10:11]
	v_fma_f64 v[188:189], v[4:5], 2.0, -v[172:173]
	s_delay_alu instid0(VALU_DEP_4) | instskip(NEXT) | instid1(VALU_DEP_4)
	v_fma_f64 v[190:191], v[6:7], 2.0, -v[174:175]
	v_fma_f64 v[140:141], v[0:1], 2.0, -v[208:209]
	s_delay_alu instid0(VALU_DEP_4)
	v_fma_f64 v[142:143], v[2:3], 2.0, -v[210:211]
	ds_store_b128 v212, v[152:155] offset:19040
	ds_store_b128 v212, v[156:159] offset:20400
	;; [unrolled: 1-line block ×14, first 2 shown]
	ds_store_b128 v212, v[140:143]
	ds_store_b128 v212, v[176:179] offset:1360
	s_waitcnt lgkmcnt(0)
	s_waitcnt_vscnt null, 0x0
	s_barrier
	buffer_gl0_inv
	s_and_saveexec_b32 s8, vcc_lo
	s_cbranch_execz .LBB0_13
; %bb.12:
	s_add_u32 s2, s12, 0x5500
	s_addc_u32 s3, s13, 0
	v_or_b32_e32 v12, 0x2800, v223
	s_clause 0x3
	global_load_b128 v[0:3], v223, s[2:3]
	global_load_b128 v[4:7], v223, s[2:3] offset:1280
	global_load_b128 v[8:11], v223, s[2:3] offset:2560
	;; [unrolled: 1-line block ×3, first 2 shown]
	ds_load_b128 v[88:91], v212
	ds_load_b128 v[144:147], v212 offset:1280
	v_add_co_u32 v16, s1, s2, v223
	global_load_b128 v[84:87], v12, s[2:3]
	v_add_co_ci_u32_e64 v17, null, s3, 0, s1
	v_add_co_u32 v217, s1, 0x1000, v16
	v_dual_mov_b32 v18, v223 :: v_dual_mov_b32 v19, v229
	s_delay_alu instid0(VALU_DEP_3)
	v_add_co_ci_u32_e64 v218, s1, 0, v17, s1
	v_dual_mov_b32 v20, v224 :: v_dual_mov_b32 v21, v230
	ds_load_b128 v[229:232], v212 offset:12800
	ds_load_b128 v[233:236], v212 offset:14080
	;; [unrolled: 1-line block ×7, first 2 shown]
	global_load_b128 v[148:151], v[217:218], off offset:2304
	ds_load_b128 v[213:216], v212 offset:6400
	ds_load_b128 v[221:224], v212 offset:8960
	s_waitcnt vmcnt(5) lgkmcnt(10)
	v_mul_f64 v[12:13], v[90:91], v[2:3]
	v_mul_f64 v[2:3], v[88:89], v[2:3]
	s_delay_alu instid0(VALU_DEP_2) | instskip(SKIP_3) | instid1(VALU_DEP_4)
	v_fma_f64 v[88:89], v[88:89], v[0:1], -v[12:13]
	s_waitcnt vmcnt(4) lgkmcnt(9)
	v_mul_f64 v[12:13], v[146:147], v[6:7]
	v_mul_f64 v[6:7], v[144:145], v[6:7]
	v_fma_f64 v[90:91], v[90:91], v[0:1], v[2:3]
	ds_load_b128 v[0:3], v212 offset:2560
	v_fma_f64 v[144:145], v[144:145], v[4:5], -v[12:13]
	v_fma_f64 v[146:147], v[146:147], v[4:5], v[6:7]
	ds_load_b128 v[4:7], v212 offset:3840
	s_waitcnt vmcnt(3) lgkmcnt(1)
	v_mul_f64 v[12:13], v[2:3], v[10:11]
	v_mul_f64 v[10:11], v[0:1], v[10:11]
	s_waitcnt vmcnt(2) lgkmcnt(0)
	v_mul_f64 v[14:15], v[4:5], v[82:83]
	s_delay_alu instid0(VALU_DEP_3) | instskip(SKIP_1) | instid1(VALU_DEP_4)
	v_fma_f64 v[0:1], v[0:1], v[8:9], -v[12:13]
	v_mul_f64 v[12:13], v[6:7], v[82:83]
	v_fma_f64 v[2:3], v[2:3], v[8:9], v[10:11]
	ds_load_b128 v[8:11], v212 offset:10240
	v_fma_f64 v[6:7], v[6:7], v[80:81], v[14:15]
	s_waitcnt vmcnt(1) lgkmcnt(0)
	v_mul_f64 v[14:15], v[8:9], v[86:87]
	v_fma_f64 v[4:5], v[4:5], v[80:81], -v[12:13]
	global_load_b128 v[80:83], v[217:218], off offset:1024
	v_mul_f64 v[12:13], v[10:11], v[86:87]
	v_fma_f64 v[10:11], v[10:11], v[84:85], v[14:15]
	s_delay_alu instid0(VALU_DEP_2) | instskip(SKIP_4) | instid1(VALU_DEP_2)
	v_fma_f64 v[8:9], v[8:9], v[84:85], -v[12:13]
	ds_load_b128 v[84:87], v212 offset:5120
	s_waitcnt vmcnt(0) lgkmcnt(0)
	v_mul_f64 v[12:13], v[86:87], v[82:83]
	v_mul_f64 v[14:15], v[84:85], v[82:83]
	v_fma_f64 v[82:83], v[84:85], v[80:81], -v[12:13]
	s_delay_alu instid0(VALU_DEP_2) | instskip(SKIP_2) | instid1(VALU_DEP_2)
	v_fma_f64 v[84:85], v[86:87], v[80:81], v[14:15]
	v_mul_f64 v[12:13], v[215:216], v[150:151]
	v_mul_f64 v[14:15], v[213:214], v[150:151]
	v_fma_f64 v[213:214], v[213:214], v[148:149], -v[12:13]
	s_delay_alu instid0(VALU_DEP_2)
	v_fma_f64 v[215:216], v[215:216], v[148:149], v[14:15]
	global_load_b128 v[148:151], v[217:218], off offset:3584
	ds_load_b128 v[217:220], v212 offset:7680
	s_waitcnt vmcnt(0) lgkmcnt(0)
	v_mul_f64 v[12:13], v[219:220], v[150:151]
	v_mul_f64 v[14:15], v[217:218], v[150:151]
	s_delay_alu instid0(VALU_DEP_2) | instskip(SKIP_1) | instid1(VALU_DEP_1)
	v_fma_f64 v[217:218], v[217:218], v[148:149], -v[12:13]
	v_add_co_u32 v12, s1, 0x2000, v16
	v_add_co_ci_u32_e64 v13, s1, 0, v17, s1
	s_delay_alu instid0(VALU_DEP_4) | instskip(SKIP_4) | instid1(VALU_DEP_2)
	v_fma_f64 v[219:220], v[219:220], v[148:149], v[14:15]
	global_load_b128 v[148:151], v[12:13], off offset:768
	s_waitcnt vmcnt(0)
	v_mul_f64 v[14:15], v[223:224], v[150:151]
	v_mul_f64 v[80:81], v[221:222], v[150:151]
	v_fma_f64 v[221:222], v[221:222], v[148:149], -v[14:15]
	s_delay_alu instid0(VALU_DEP_2) | instskip(SKIP_4) | instid1(VALU_DEP_2)
	v_fma_f64 v[223:224], v[223:224], v[148:149], v[80:81]
	global_load_b128 v[148:151], v[12:13], off offset:3328
	s_waitcnt vmcnt(0)
	v_mul_f64 v[12:13], v[227:228], v[150:151]
	v_mul_f64 v[14:15], v[225:226], v[150:151]
	v_fma_f64 v[225:226], v[225:226], v[148:149], -v[12:13]
	v_add_co_u32 v12, s1, 0x3000, v16
	s_delay_alu instid0(VALU_DEP_1) | instskip(NEXT) | instid1(VALU_DEP_4)
	v_add_co_ci_u32_e64 v13, s1, 0, v17, s1
	v_fma_f64 v[227:228], v[227:228], v[148:149], v[14:15]
	global_load_b128 v[148:151], v[12:13], off offset:512
	s_waitcnt vmcnt(0)
	v_mul_f64 v[14:15], v[231:232], v[150:151]
	v_mul_f64 v[80:81], v[229:230], v[150:151]
	s_delay_alu instid0(VALU_DEP_2) | instskip(NEXT) | instid1(VALU_DEP_2)
	v_fma_f64 v[229:230], v[229:230], v[148:149], -v[14:15]
	v_fma_f64 v[231:232], v[231:232], v[148:149], v[80:81]
	global_load_b128 v[148:151], v[12:13], off offset:1792
	s_waitcnt vmcnt(0)
	v_mul_f64 v[14:15], v[235:236], v[150:151]
	v_mul_f64 v[80:81], v[233:234], v[150:151]
	s_delay_alu instid0(VALU_DEP_2) | instskip(NEXT) | instid1(VALU_DEP_2)
	v_fma_f64 v[233:234], v[233:234], v[148:149], -v[14:15]
	v_fma_f64 v[235:236], v[235:236], v[148:149], v[80:81]
	global_load_b128 v[148:151], v[12:13], off offset:3072
	s_waitcnt vmcnt(0)
	v_mul_f64 v[12:13], v[239:240], v[150:151]
	v_mul_f64 v[14:15], v[237:238], v[150:151]
	s_delay_alu instid0(VALU_DEP_2) | instskip(SKIP_1) | instid1(VALU_DEP_1)
	v_fma_f64 v[237:238], v[237:238], v[148:149], -v[12:13]
	v_add_co_u32 v12, s1, 0x4000, v16
	v_add_co_ci_u32_e64 v13, s1, 0, v17, s1
	s_delay_alu instid0(VALU_DEP_4) | instskip(SKIP_4) | instid1(VALU_DEP_2)
	v_fma_f64 v[239:240], v[239:240], v[148:149], v[14:15]
	global_load_b128 v[148:151], v[12:13], off offset:256
	s_waitcnt vmcnt(0)
	v_mul_f64 v[14:15], v[243:244], v[150:151]
	v_mul_f64 v[80:81], v[241:242], v[150:151]
	v_fma_f64 v[241:242], v[241:242], v[148:149], -v[14:15]
	s_delay_alu instid0(VALU_DEP_2) | instskip(SKIP_4) | instid1(VALU_DEP_2)
	v_fma_f64 v[243:244], v[243:244], v[148:149], v[80:81]
	global_load_b128 v[148:151], v[12:13], off offset:1536
	s_waitcnt vmcnt(0)
	v_mul_f64 v[14:15], v[247:248], v[150:151]
	v_mul_f64 v[80:81], v[245:246], v[150:151]
	v_fma_f64 v[245:246], v[245:246], v[148:149], -v[14:15]
	s_delay_alu instid0(VALU_DEP_2) | instskip(SKIP_4) | instid1(VALU_DEP_2)
	v_fma_f64 v[247:248], v[247:248], v[148:149], v[80:81]
	global_load_b128 v[148:151], v[12:13], off offset:2816
	s_waitcnt vmcnt(0)
	v_mul_f64 v[12:13], v[251:252], v[150:151]
	v_mul_f64 v[14:15], v[249:250], v[150:151]
	v_fma_f64 v[249:250], v[249:250], v[148:149], -v[12:13]
	v_or_b32_e32 v12, 0x5000, v18
	s_delay_alu instid0(VALU_DEP_3)
	v_fma_f64 v[251:252], v[251:252], v[148:149], v[14:15]
	global_load_b128 v[148:151], v12, s[2:3]
	ds_load_b128 v[12:15], v212 offset:20480
	ds_store_b128 v212, v[88:91]
	ds_store_b128 v212, v[144:147] offset:1280
	ds_store_b128 v212, v[0:3] offset:2560
	ds_store_b128 v212, v[4:7] offset:3840
	ds_store_b128 v212, v[8:11] offset:10240
	ds_store_b128 v212, v[82:85] offset:5120
	ds_store_b128 v212, v[213:216] offset:6400
	ds_store_b128 v212, v[217:220] offset:7680
	ds_store_b128 v212, v[221:224] offset:8960
	v_dual_mov_b32 v224, v20 :: v_dual_mov_b32 v223, v18
	ds_store_b128 v212, v[225:228] offset:11520
	ds_store_b128 v212, v[229:232] offset:12800
	v_dual_mov_b32 v230, v21 :: v_dual_mov_b32 v229, v19
	s_waitcnt vmcnt(0) lgkmcnt(11)
	v_mul_f64 v[80:81], v[14:15], v[150:151]
	v_mul_f64 v[86:87], v[12:13], v[150:151]
	s_delay_alu instid0(VALU_DEP_2) | instskip(NEXT) | instid1(VALU_DEP_2)
	v_fma_f64 v[12:13], v[12:13], v[148:149], -v[80:81]
	v_fma_f64 v[14:15], v[14:15], v[148:149], v[86:87]
	ds_store_b128 v212, v[233:236] offset:14080
	ds_store_b128 v212, v[237:240] offset:15360
	;; [unrolled: 1-line block ×6, first 2 shown]
.LBB0_13:
	s_or_b32 exec_lo, exec_lo, s8
	s_waitcnt lgkmcnt(0)
	s_barrier
	buffer_gl0_inv
	s_and_saveexec_b32 s1, vcc_lo
	s_cbranch_execz .LBB0_15
; %bb.14:
	ds_load_b128 v[140:143], v212
	ds_load_b128 v[176:179], v212 offset:1280
	ds_load_b128 v[180:183], v212 offset:2560
	;; [unrolled: 1-line block ×16, first 2 shown]
.LBB0_15:
	s_or_b32 exec_lo, exec_lo, s1
	s_waitcnt lgkmcnt(0)
	v_add_f64 v[4:5], v[178:179], -v[138:139]
	s_mov_b32 s10, 0x5d8e7cdc
	s_mov_b32 s11, 0xbfd71e95
	v_add_f64 v[2:3], v[136:137], v[176:177]
	v_add_f64 v[16:17], v[182:183], -v[158:159]
	s_mov_b32 s2, 0x370991
	s_mov_b32 s16, 0x2a9d6da3
	;; [unrolled: 1-line block ×4, first 2 shown]
	v_add_f64 v[213:214], v[156:157], v[180:181]
	s_mov_b32 s8, 0x75d4884
	s_mov_b32 s9, 0x3fe7a5f6
	v_add_f64 v[8:9], v[138:139], v[178:179]
	v_add_f64 v[215:216], v[158:159], v[182:183]
	v_add_f64 v[231:232], v[180:181], -v[156:157]
	v_add_f64 v[18:19], v[186:187], -v[154:155]
	s_mov_b32 s24, 0x7c9e640b
	s_mov_b32 s25, 0xbfeca52d
	v_add_f64 v[217:218], v[152:153], v[184:185]
	v_add_f64 v[219:220], v[154:155], v[186:187]
	s_mov_b32 s18, 0x2b2883cd
	s_mov_b32 s19, 0x3fdc86fa
	v_add_f64 v[243:244], v[184:185], -v[152:153]
	v_add_f64 v[241:242], v[190:191], -v[162:163]
	s_mov_b32 s34, 0xeb564b22
	s_mov_b32 s35, 0xbfefdd0d
	v_add_f64 v[221:222], v[160:161], v[188:189]
	v_add_f64 v[225:226], v[162:163], v[190:191]
	s_mov_b32 s20, 0x3259b75e
	s_mov_b32 s21, 0x3fb79ee6
	;; [unrolled: 8-line block ×3, first 2 shown]
	v_mul_f64 v[38:39], v[4:5], s[10:11]
	v_add_f64 v[82:83], v[200:201], -v[172:173]
	v_add_f64 v[80:81], v[194:195], -v[170:171]
	s_mov_b32 s36, 0x6c9a05f6
	v_mul_f64 v[20:21], v[16:17], s[16:17]
	s_mov_b32 s37, 0xbfe9895b
	v_add_f64 v[235:236], v[192:193], v[168:169]
	v_add_f64 v[237:238], v[194:195], v[170:171]
	s_mov_b32 s26, 0x6ed5f1bb
	s_mov_b32 s27, 0xbfe348c8
	v_add_f64 v[84:85], v[192:193], -v[168:169]
	v_add_f64 v[90:91], v[206:207], -v[166:167]
	v_mul_f64 v[104:105], v[8:9], s[2:3]
	v_mul_f64 v[34:35], v[215:216], s[8:9]
	s_mov_b32 s40, 0x4363dd80
	v_mul_f64 v[36:37], v[18:19], s[24:25]
	s_mov_b32 s41, 0x3fe0d888
	s_mov_b32 s39, 0xbfe0d888
	;; [unrolled: 1-line block ×3, first 2 shown]
	v_mul_f64 v[40:41], v[219:220], s[18:19]
	v_add_f64 v[239:240], v[164:165], v[204:205]
	s_mov_b32 s28, 0x910ea3b9
	s_mov_b32 s29, 0xbfeb34fa
	v_mul_f64 v[42:43], v[241:242], s[34:35]
	v_add_f64 v[245:246], v[166:167], v[206:207]
	v_add_f64 v[86:87], v[210:211], -v[198:199]
	s_mov_b32 s49, 0xbfc7851a
	v_mul_f64 v[50:51], v[225:226], s[20:21]
	s_mov_b32 s48, 0xacd6c6b4
	v_add_f64 v[247:248], v[196:197], v[208:209]
	v_add_f64 v[249:250], v[198:199], v[210:211]
	v_mul_f64 v[48:49], v[251:252], s[46:47]
	s_mov_b32 s30, 0x7faef3
	s_mov_b32 s31, 0xbfef7484
	v_add_f64 v[88:89], v[208:209], -v[196:197]
	v_mul_f64 v[54:55], v[233:234], s[22:23]
	v_mul_f64 v[92:93], v[16:17], s[34:35]
	v_mul_f64 v[106:107], v[219:220], s[26:27]
	v_fma_f64 v[0:1], v[2:3], s[2:3], -v[38:39]
	v_mul_f64 v[108:109], v[215:216], s[20:21]
	v_mul_f64 v[52:53], v[80:81], s[36:37]
	;; [unrolled: 1-line block ×3, first 2 shown]
	v_fma_f64 v[6:7], v[213:214], s[8:9], -v[20:21]
	v_mul_f64 v[114:115], v[241:242], s[48:49]
	v_mul_f64 v[112:113], v[251:252], s[40:41]
	;; [unrolled: 1-line block ×3, first 2 shown]
	s_mov_b32 s45, 0x3feec746
	s_mov_b32 s44, s46
	s_mov_b32 s43, 0x3feca52d
	v_mul_f64 v[56:57], v[90:91], s[38:39]
	v_mul_f64 v[116:117], v[80:81], s[44:45]
	v_fma_f64 v[12:13], v[231:232], s[16:17], v[34:35]
	s_mov_b32 s42, s24
	s_mov_b32 s51, 0x3fd71e95
	v_mul_f64 v[118:119], v[90:91], s[42:43]
	s_mov_b32 s50, s10
	v_mul_f64 v[96:97], v[245:246], s[28:29]
	v_mul_f64 v[94:95], v[86:87], s[48:49]
	;; [unrolled: 1-line block ×3, first 2 shown]
	scratch_store_b64 off, v[106:107], off offset:344 ; 8-byte Folded Spill
	v_add_f64 v[0:1], v[140:141], v[0:1]
	v_fma_f64 v[144:145], v[231:232], s[34:35], v[108:109]
	s_delay_alu instid0(VALU_DEP_2) | instskip(SKIP_1) | instid1(VALU_DEP_1)
	v_add_f64 v[0:1], v[6:7], v[0:1]
	v_add_f64 v[6:7], v[176:177], -v[136:137]
	v_fma_f64 v[10:11], v[6:7], s[10:11], v[104:105]
	s_delay_alu instid0(VALU_DEP_1) | instskip(NEXT) | instid1(VALU_DEP_1)
	v_add_f64 v[10:11], v[142:143], v[10:11]
	v_add_f64 v[10:11], v[12:13], v[10:11]
	v_fma_f64 v[12:13], v[217:218], s[18:19], -v[36:37]
	s_delay_alu instid0(VALU_DEP_1) | instskip(SKIP_1) | instid1(VALU_DEP_1)
	v_add_f64 v[0:1], v[12:13], v[0:1]
	v_fma_f64 v[12:13], v[243:244], s[24:25], v[40:41]
	v_add_f64 v[10:11], v[12:13], v[10:11]
	v_fma_f64 v[12:13], v[221:222], s[20:21], -v[42:43]
	s_delay_alu instid0(VALU_DEP_1) | instskip(SKIP_1) | instid1(VALU_DEP_1)
	v_add_f64 v[0:1], v[12:13], v[0:1]
	v_fma_f64 v[12:13], v[253:254], s[34:35], v[50:51]
	;; [unrolled: 5-line block ×4, first 2 shown]
	v_add_f64 v[10:11], v[12:13], v[10:11]
	v_fma_f64 v[12:13], v[239:240], s[28:29], -v[56:57]
	s_delay_alu instid0(VALU_DEP_1) | instskip(SKIP_1) | instid1(VALU_DEP_1)
	v_add_f64 v[12:13], v[12:13], v[0:1]
	v_add_f64 v[0:1], v[204:205], -v[164:165]
	v_fma_f64 v[14:15], v[0:1], s[38:39], v[96:97]
	s_delay_alu instid0(VALU_DEP_1) | instskip(SKIP_1) | instid1(VALU_DEP_1)
	v_add_f64 v[10:11], v[14:15], v[10:11]
	v_fma_f64 v[14:15], v[247:248], s[30:31], -v[94:95]
	v_add_f64 v[148:149], v[14:15], v[12:13]
	v_fma_f64 v[12:13], v[88:89], s[48:49], v[110:111]
	s_delay_alu instid0(VALU_DEP_1) | instskip(SKIP_4) | instid1(VALU_DEP_1)
	v_add_f64 v[150:151], v[12:13], v[10:11]
	v_mul_f64 v[10:11], v[4:5], s[16:17]
	v_fma_f64 v[12:13], v[213:214], s[20:21], -v[92:93]
	scratch_store_b64 off, v[10:11], off offset:392 ; 8-byte Folded Spill
	v_fma_f64 v[10:11], v[2:3], s[8:9], -v[10:11]
	v_add_f64 v[10:11], v[140:141], v[10:11]
	s_delay_alu instid0(VALU_DEP_1) | instskip(SKIP_1) | instid1(VALU_DEP_1)
	v_add_f64 v[12:13], v[12:13], v[10:11]
	v_mul_f64 v[10:11], v[8:9], s[8:9]
	v_fma_f64 v[14:15], v[6:7], s[16:17], v[10:11]
	s_delay_alu instid0(VALU_DEP_1) | instskip(NEXT) | instid1(VALU_DEP_1)
	v_add_f64 v[14:15], v[142:143], v[14:15]
	v_add_f64 v[14:15], v[144:145], v[14:15]
	v_fma_f64 v[144:145], v[217:218], s[26:27], -v[98:99]
	s_delay_alu instid0(VALU_DEP_1) | instskip(SKIP_2) | instid1(VALU_DEP_2)
	v_add_f64 v[12:13], v[144:145], v[12:13]
	v_fma_f64 v[144:145], v[243:244], s[36:37], v[106:107]
	v_mul_f64 v[106:107], v[225:226], s[30:31]
	v_add_f64 v[14:15], v[144:145], v[14:15]
	v_fma_f64 v[144:145], v[221:222], s[30:31], -v[114:115]
	scratch_store_b64 off, v[106:107], off offset:384 ; 8-byte Folded Spill
	v_add_f64 v[12:13], v[144:145], v[12:13]
	v_fma_f64 v[144:145], v[253:254], s[48:49], v[106:107]
	v_mul_f64 v[106:107], v[233:234], s[28:29]
	s_delay_alu instid0(VALU_DEP_2)
	v_add_f64 v[14:15], v[144:145], v[14:15]
	v_fma_f64 v[144:145], v[227:228], s[28:29], -v[112:113]
	scratch_store_b64 off, v[106:107], off offset:352 ; 8-byte Folded Spill
	v_add_f64 v[12:13], v[144:145], v[12:13]
	v_fma_f64 v[144:145], v[82:83], s[40:41], v[106:107]
	v_mul_f64 v[106:107], v[237:238], s[22:23]
	s_delay_alu instid0(VALU_DEP_2)
	;; [unrolled: 7-line block ×3, first 2 shown]
	v_add_f64 v[14:15], v[144:145], v[14:15]
	v_fma_f64 v[144:145], v[239:240], s[18:19], -v[118:119]
	scratch_store_b64 off, v[106:107], off offset:368 ; 8-byte Folded Spill
	v_add_f64 v[12:13], v[144:145], v[12:13]
	v_fma_f64 v[144:145], v[0:1], s[42:43], v[106:107]
	v_mul_f64 v[106:107], v[86:87], s[50:51]
	s_delay_alu instid0(VALU_DEP_2) | instskip(NEXT) | instid1(VALU_DEP_2)
	v_add_f64 v[14:15], v[144:145], v[14:15]
	v_fma_f64 v[144:145], v[247:248], s[2:3], -v[106:107]
	s_delay_alu instid0(VALU_DEP_1)
	v_add_f64 v[144:145], v[144:145], v[12:13]
	v_mul_f64 v[12:13], v[249:250], s[2:3]
	scratch_store_b64 off, v[12:13], off offset:376 ; 8-byte Folded Spill
	v_fma_f64 v[12:13], v[88:89], s[50:51], v[12:13]
	s_waitcnt_vscnt null, 0x0
	s_barrier
	buffer_gl0_inv
	v_add_f64 v[146:147], v[12:13], v[14:15]
	s_and_saveexec_b32 s1, vcc_lo
	s_cbranch_execz .LBB0_17
; %bb.16:
	v_add_f64 v[14:15], v[140:141], v[176:177]
	v_add_f64 v[12:13], v[142:143], v[178:179]
	v_mul_f64 v[176:177], v[4:5], s[36:37]
	v_mul_f64 v[178:179], v[4:5], s[46:47]
	s_mov_b32 s55, 0x3fe58eea
	s_mov_b32 s54, s16
	;; [unrolled: 1-line block ×6, first 2 shown]
	s_delay_alu instid0(VALU_DEP_4) | instskip(NEXT) | instid1(VALU_DEP_4)
	v_add_f64 v[14:15], v[180:181], v[14:15]
	v_add_f64 v[12:13], v[182:183], v[12:13]
	v_mul_f64 v[180:181], v[4:5], s[34:35]
	s_delay_alu instid0(VALU_DEP_3) | instskip(NEXT) | instid1(VALU_DEP_3)
	v_add_f64 v[14:15], v[184:185], v[14:15]
	v_add_f64 v[12:13], v[186:187], v[12:13]
	v_fma_f64 v[186:187], v[2:3], s[26:27], -v[176:177]
	v_fma_f64 v[176:177], v[2:3], s[26:27], v[176:177]
	s_delay_alu instid0(VALU_DEP_4) | instskip(NEXT) | instid1(VALU_DEP_4)
	v_add_f64 v[14:15], v[188:189], v[14:15]
	v_add_f64 v[12:13], v[190:191], v[12:13]
	v_fma_f64 v[188:189], v[2:3], s[22:23], -v[178:179]
	v_fma_f64 v[178:179], v[2:3], s[22:23], v[178:179]
	v_fma_f64 v[190:191], v[2:3], s[20:21], -v[180:181]
	v_fma_f64 v[180:181], v[2:3], s[20:21], v[180:181]
	v_add_f64 v[176:177], v[140:141], v[176:177]
	v_add_f64 v[14:15], v[200:201], v[14:15]
	;; [unrolled: 1-line block ×4, first 2 shown]
	s_delay_alu instid0(VALU_DEP_3) | instskip(NEXT) | instid1(VALU_DEP_3)
	v_add_f64 v[14:15], v[192:193], v[14:15]
	v_add_f64 v[12:13], v[194:195], v[12:13]
	v_dual_mov_b32 v195, v19 :: v_dual_mov_b32 v194, v18
	s_delay_alu instid0(VALU_DEP_3) | instskip(NEXT) | instid1(VALU_DEP_3)
	v_add_f64 v[14:15], v[204:205], v[14:15]
	v_add_f64 v[12:13], v[206:207], v[12:13]
	v_mul_f64 v[204:205], v[241:242], s[54:55]
	v_mul_f64 v[206:207], v[82:83], s[36:37]
	s_delay_alu instid0(VALU_DEP_4) | instskip(NEXT) | instid1(VALU_DEP_4)
	v_add_f64 v[14:15], v[208:209], v[14:15]
	v_add_f64 v[12:13], v[210:211], v[12:13]
	v_mul_f64 v[208:209], v[251:252], s[36:37]
	v_mul_f64 v[210:211], v[84:85], s[42:43]
	s_delay_alu instid0(VALU_DEP_4) | instskip(NEXT) | instid1(VALU_DEP_4)
	v_add_f64 v[14:15], v[196:197], v[14:15]
	v_add_f64 v[12:13], v[198:199], v[12:13]
	s_delay_alu instid0(VALU_DEP_2) | instskip(NEXT) | instid1(VALU_DEP_2)
	v_add_f64 v[14:15], v[164:165], v[14:15]
	v_add_f64 v[12:13], v[166:167], v[12:13]
	v_mul_f64 v[164:165], v[6:7], s[34:35]
	s_delay_alu instid0(VALU_DEP_3) | instskip(NEXT) | instid1(VALU_DEP_3)
	v_add_f64 v[14:15], v[168:169], v[14:15]
	v_add_f64 v[12:13], v[170:171], v[12:13]
	v_mul_f64 v[168:169], v[6:7], s[24:25]
	s_delay_alu instid0(VALU_DEP_4)
	v_fma_f64 v[166:167], v[8:9], s[20:21], v[164:165]
	v_fma_f64 v[164:165], v[8:9], s[20:21], -v[164:165]
	v_add_f64 v[14:15], v[172:173], v[14:15]
	scratch_load_b64 v[172:173], off, off offset:392 ; 8-byte Folded Reload
	v_add_f64 v[12:13], v[174:175], v[12:13]
	v_fma_f64 v[170:171], v[8:9], s[18:19], v[168:169]
	v_mul_f64 v[174:175], v[4:5], s[38:39]
	v_add_f64 v[164:165], v[142:143], v[164:165]
	v_add_f64 v[14:15], v[160:161], v[14:15]
	v_mul_f64 v[160:161], v[6:7], s[46:47]
	v_add_f64 v[12:13], v[162:163], v[12:13]
	v_fma_f64 v[184:185], v[2:3], s[28:29], -v[174:175]
	v_fma_f64 v[174:175], v[2:3], s[28:29], v[174:175]
	v_add_f64 v[14:15], v[152:153], v[14:15]
	v_mul_f64 v[152:153], v[6:7], s[38:39]
	v_add_f64 v[12:13], v[154:155], v[12:13]
	v_fma_f64 v[162:163], v[8:9], s[22:23], v[160:161]
	v_fma_f64 v[160:161], v[8:9], s[22:23], -v[160:161]
	v_add_f64 v[184:185], v[140:141], v[184:185]
	v_add_f64 v[174:175], v[140:141], v[174:175]
	;; [unrolled: 1-line block ×3, first 2 shown]
	v_mul_f64 v[156:157], v[6:7], s[36:37]
	v_add_f64 v[12:13], v[158:159], v[12:13]
	v_fma_f64 v[154:155], v[8:9], s[28:29], v[152:153]
	v_fma_f64 v[152:153], v[8:9], s[28:29], -v[152:153]
	v_add_f64 v[200:201], v[142:143], v[160:161]
	v_add_f64 v[136:137], v[136:137], v[14:15]
	v_fma_f64 v[158:159], v[8:9], s[26:27], v[156:157]
	v_add_f64 v[138:139], v[138:139], v[12:13]
	v_mul_f64 v[12:13], v[6:7], s[48:49]
	v_fma_f64 v[156:157], v[8:9], s[26:27], -v[156:157]
	v_add_f64 v[154:155], v[142:143], v[154:155]
	v_add_f64 v[152:153], v[142:143], v[152:153]
	s_delay_alu instid0(VALU_DEP_4)
	v_fma_f64 v[14:15], v[8:9], s[30:31], v[12:13]
	v_fma_f64 v[12:13], v[8:9], s[30:31], -v[12:13]
	v_fma_f64 v[8:9], v[8:9], s[18:19], -v[168:169]
	v_mul_f64 v[168:169], v[6:7], s[16:17]
	v_mul_f64 v[6:7], v[6:7], s[10:11]
	v_add_f64 v[196:197], v[142:143], v[156:157]
	v_add_f64 v[14:15], v[142:143], v[14:15]
	;; [unrolled: 1-line block ×4, first 2 shown]
	v_add_f64 v[10:11], v[10:11], -v[168:169]
	v_mul_f64 v[168:169], v[2:3], s[8:9]
	v_add_f64 v[6:7], v[104:105], -v[6:7]
	s_delay_alu instid0(VALU_DEP_3) | instskip(SKIP_2) | instid1(VALU_DEP_4)
	v_add_f64 v[156:157], v[142:143], v[10:11]
	v_mul_f64 v[10:11], v[243:244], s[38:39]
	s_waitcnt vmcnt(0)
	v_add_f64 v[168:169], v[168:169], v[172:173]
	v_mul_f64 v[172:173], v[4:5], s[48:49]
	v_mul_f64 v[4:5], v[4:5], s[24:25]
	s_delay_alu instid0(VALU_DEP_2) | instskip(SKIP_1) | instid1(VALU_DEP_3)
	v_fma_f64 v[182:183], v[2:3], s[30:31], -v[172:173]
	v_fma_f64 v[172:173], v[2:3], s[30:31], v[172:173]
	v_fma_f64 v[192:193], v[2:3], s[18:19], -v[4:5]
	v_fma_f64 v[4:5], v[2:3], s[18:19], v[4:5]
	v_mul_f64 v[2:3], v[2:3], s[2:3]
	v_add_f64 v[182:183], v[140:141], v[182:183]
	v_add_f64 v[172:173], v[140:141], v[172:173]
	s_delay_alu instid0(VALU_DEP_3)
	v_add_f64 v[2:3], v[2:3], v[38:39]
	v_add_f64 v[38:39], v[142:143], v[158:159]
	;; [unrolled: 1-line block ×4, first 2 shown]
	v_mul_f64 v[6:7], v[16:17], s[50:51]
	scratch_store_b64 off, v[38:39], off offset:448 ; 8-byte Folded Spill
	v_add_f64 v[38:39], v[140:141], v[186:187]
	v_dual_mov_b32 v187, v17 :: v_dual_mov_b32 v186, v16
	v_fma_f64 v[8:9], v[213:214], s[2:3], -v[6:7]
	v_mul_f64 v[16:17], v[90:91], s[46:47]
	v_fma_f64 v[6:7], v[213:214], s[2:3], v[6:7]
	scratch_store_b64 off, v[38:39], off offset:440 ; 8-byte Folded Spill
	v_add_f64 v[38:39], v[142:143], v[162:163]
	v_add_f64 v[162:163], v[140:141], v[4:5]
	;; [unrolled: 1-line block ×3, first 2 shown]
	v_mul_f64 v[182:183], v[253:254], s[54:55]
	v_add_f64 v[6:7], v[6:7], v[172:173]
	scratch_store_b64 off, v[38:39], off offset:432 ; 8-byte Folded Spill
	v_add_f64 v[38:39], v[140:141], v[188:189]
	scratch_store_b64 off, v[38:39], off offset:424 ; 8-byte Folded Spill
	v_add_f64 v[38:39], v[142:143], v[166:167]
	v_add_f64 v[166:167], v[140:141], v[180:181]
	scratch_store_b64 off, v[38:39], off offset:416 ; 8-byte Folded Spill
	v_add_f64 v[38:39], v[140:141], v[190:191]
	scratch_store_b64 off, v[38:39], off offset:408 ; 8-byte Folded Spill
	v_add_f64 v[38:39], v[142:143], v[170:171]
	v_add_f64 v[170:171], v[140:141], v[2:3]
	v_mul_f64 v[2:3], v[231:232], s[50:51]
	scratch_store_b64 off, v[38:39], off offset:400 ; 8-byte Folded Spill
	v_add_f64 v[38:39], v[140:141], v[192:193]
	v_fma_f64 v[4:5], v[215:216], s[2:3], v[2:3]
	v_fma_f64 v[2:3], v[215:216], s[2:3], -v[2:3]
	scratch_store_b64 off, v[38:39], off offset:392 ; 8-byte Folded Spill
	v_add_f64 v[4:5], v[4:5], v[14:15]
	v_fma_f64 v[14:15], v[219:220], s[28:29], v[10:11]
	v_dual_mov_b32 v38, v106 :: v_dual_mov_b32 v39, v107
	v_dual_mov_b32 v107, v67 :: v_dual_mov_b32 v106, v66
	;; [unrolled: 1-line block ×5, first 2 shown]
	v_mul_f64 v[223:224], v[80:81], s[42:43]
	v_mul_f64 v[229:230], v[0:1], s[46:47]
	v_add_f64 v[2:3], v[2:3], v[12:13]
	v_mul_f64 v[12:13], v[186:187], s[42:43]
	v_add_f64 v[4:5], v[14:15], v[4:5]
	v_mul_f64 v[14:15], v[18:19], s[38:39]
	v_fma_f64 v[18:19], v[239:240], s[22:23], -v[16:17]
	s_delay_alu instid0(VALU_DEP_2) | instskip(NEXT) | instid1(VALU_DEP_1)
	v_fma_f64 v[140:141], v[217:218], s[28:29], -v[14:15]
	v_add_f64 v[8:9], v[140:141], v[8:9]
	v_fma_f64 v[140:141], v[225:226], s[8:9], v[182:183]
	s_delay_alu instid0(VALU_DEP_1) | instskip(SKIP_1) | instid1(VALU_DEP_1)
	v_add_f64 v[4:5], v[140:141], v[4:5]
	v_fma_f64 v[140:141], v[221:222], s[8:9], -v[204:205]
	v_add_f64 v[8:9], v[140:141], v[8:9]
	v_fma_f64 v[140:141], v[233:234], s[26:27], v[206:207]
	s_delay_alu instid0(VALU_DEP_1) | instskip(SKIP_1) | instid1(VALU_DEP_1)
	v_add_f64 v[4:5], v[140:141], v[4:5]
	;; [unrolled: 5-line block ×3, first 2 shown]
	v_fma_f64 v[140:141], v[235:236], s[18:19], -v[223:224]
	v_add_f64 v[8:9], v[140:141], v[8:9]
	v_fma_f64 v[140:141], v[245:246], s[22:23], v[229:230]
	s_delay_alu instid0(VALU_DEP_2) | instskip(SKIP_1) | instid1(VALU_DEP_3)
	v_add_f64 v[8:9], v[18:19], v[8:9]
	v_mul_f64 v[18:19], v[88:89], s[52:53]
	v_add_f64 v[4:5], v[140:141], v[4:5]
	s_delay_alu instid0(VALU_DEP_2) | instskip(NEXT) | instid1(VALU_DEP_1)
	v_fma_f64 v[140:141], v[249:250], s[20:21], v[18:19]
	v_add_f64 v[142:143], v[140:141], v[4:5]
	v_mul_f64 v[4:5], v[86:87], s[52:53]
	s_delay_alu instid0(VALU_DEP_1) | instskip(NEXT) | instid1(VALU_DEP_1)
	v_fma_f64 v[140:141], v[247:248], s[20:21], -v[4:5]
	v_add_f64 v[140:141], v[140:141], v[8:9]
	v_fma_f64 v[8:9], v[219:220], s[28:29], -v[10:11]
	v_fma_f64 v[10:11], v[247:248], s[20:21], v[4:5]
	s_delay_alu instid0(VALU_DEP_2) | instskip(SKIP_2) | instid1(VALU_DEP_2)
	v_add_f64 v[2:3], v[8:9], v[2:3]
	v_fma_f64 v[8:9], v[217:218], s[28:29], v[14:15]
	v_mul_f64 v[14:15], v[243:244], s[34:35]
	v_add_f64 v[6:7], v[8:9], v[6:7]
	v_fma_f64 v[8:9], v[225:226], s[8:9], -v[182:183]
	s_delay_alu instid0(VALU_DEP_1) | instskip(SKIP_1) | instid1(VALU_DEP_1)
	v_add_f64 v[2:3], v[8:9], v[2:3]
	v_fma_f64 v[8:9], v[221:222], s[8:9], v[204:205]
	v_add_f64 v[6:7], v[8:9], v[6:7]
	v_fma_f64 v[8:9], v[233:234], s[26:27], -v[206:207]
	s_delay_alu instid0(VALU_DEP_1) | instskip(SKIP_1) | instid1(VALU_DEP_1)
	v_add_f64 v[2:3], v[8:9], v[2:3]
	v_fma_f64 v[8:9], v[227:228], s[26:27], v[208:209]
	v_add_f64 v[6:7], v[8:9], v[6:7]
	v_fma_f64 v[8:9], v[237:238], s[18:19], -v[210:211]
	s_delay_alu instid0(VALU_DEP_1) | instskip(SKIP_2) | instid1(VALU_DEP_2)
	v_add_f64 v[2:3], v[8:9], v[2:3]
	v_fma_f64 v[8:9], v[235:236], s[18:19], v[223:224]
	v_mul_f64 v[223:224], v[88:89], s[46:47]
	v_add_f64 v[6:7], v[8:9], v[6:7]
	v_fma_f64 v[8:9], v[245:246], s[22:23], -v[229:230]
	v_mul_f64 v[229:230], v[86:87], s[46:47]
	s_delay_alu instid0(VALU_DEP_2) | instskip(SKIP_3) | instid1(VALU_DEP_3)
	v_add_f64 v[2:3], v[8:9], v[2:3]
	v_fma_f64 v[8:9], v[239:240], s[22:23], v[16:17]
	v_fma_f64 v[16:17], v[219:220], s[20:21], v[14:15]
	v_fma_f64 v[14:15], v[219:220], s[20:21], -v[14:15]
	v_add_f64 v[6:7], v[8:9], v[6:7]
	v_fma_f64 v[8:9], v[249:250], s[20:21], -v[18:19]
	s_delay_alu instid0(VALU_DEP_1) | instskip(NEXT) | instid1(VALU_DEP_3)
	v_add_f64 v[4:5], v[8:9], v[2:3]
	v_add_f64 v[2:3], v[10:11], v[6:7]
	v_mul_f64 v[10:11], v[231:232], s[42:43]
	v_fma_f64 v[8:9], v[213:214], s[18:19], -v[12:13]
	v_fma_f64 v[12:13], v[213:214], s[18:19], v[12:13]
	s_delay_alu instid0(VALU_DEP_3) | instskip(NEXT) | instid1(VALU_DEP_3)
	v_fma_f64 v[6:7], v[215:216], s[18:19], v[10:11]
	v_add_f64 v[8:9], v[8:9], v[184:185]
	v_fma_f64 v[10:11], v[215:216], s[18:19], -v[10:11]
	s_delay_alu instid0(VALU_DEP_4) | instskip(SKIP_2) | instid1(VALU_DEP_4)
	v_add_f64 v[12:13], v[12:13], v[174:175]
	v_mul_f64 v[174:175], v[82:83], s[46:47]
	v_add_f64 v[6:7], v[6:7], v[154:155]
	v_add_f64 v[10:11], v[10:11], v[152:153]
	v_mul_f64 v[152:153], v[221:222], s[20:21]
	s_delay_alu instid0(VALU_DEP_4) | instskip(NEXT) | instid1(VALU_DEP_4)
	v_add_f64 v[174:175], v[54:55], -v[174:175]
	v_add_f64 v[6:7], v[16:17], v[6:7]
	v_mul_f64 v[16:17], v[194:195], s[34:35]
	v_add_f64 v[10:11], v[14:15], v[10:11]
	v_add_f64 v[152:153], v[152:153], v[42:43]
	s_delay_alu instid0(VALU_DEP_3) | instskip(SKIP_2) | instid1(VALU_DEP_3)
	v_fma_f64 v[18:19], v[217:218], s[20:21], -v[16:17]
	v_fma_f64 v[14:15], v[217:218], s[20:21], v[16:17]
	v_fma_f64 v[16:17], v[247:248], s[22:23], v[229:230]
	v_add_f64 v[8:9], v[18:19], v[8:9]
	v_mul_f64 v[18:19], v[253:254], s[56:57]
	s_delay_alu instid0(VALU_DEP_4) | instskip(NEXT) | instid1(VALU_DEP_2)
	v_add_f64 v[12:13], v[14:15], v[12:13]
	v_fma_f64 v[154:155], v[225:226], s[26:27], v[18:19]
	v_fma_f64 v[14:15], v[225:226], s[26:27], -v[18:19]
	v_mul_f64 v[18:19], v[231:232], s[16:17]
	s_delay_alu instid0(VALU_DEP_3) | instskip(SKIP_1) | instid1(VALU_DEP_4)
	v_add_f64 v[6:7], v[154:155], v[6:7]
	v_mul_f64 v[154:155], v[241:242], s[56:57]
	v_add_f64 v[10:11], v[14:15], v[10:11]
	s_delay_alu instid0(VALU_DEP_4) | instskip(NEXT) | instid1(VALU_DEP_3)
	v_add_f64 v[18:19], v[34:35], -v[18:19]
	v_fma_f64 v[172:173], v[221:222], s[26:27], -v[154:155]
	v_fma_f64 v[14:15], v[221:222], s[26:27], v[154:155]
	v_mul_f64 v[154:155], v[217:218], s[18:19]
	s_delay_alu instid0(VALU_DEP_4) | instskip(NEXT) | instid1(VALU_DEP_4)
	v_add_f64 v[18:19], v[18:19], v[168:169]
	v_add_f64 v[8:9], v[172:173], v[8:9]
	v_mul_f64 v[172:173], v[82:83], s[10:11]
	v_add_f64 v[12:13], v[14:15], v[12:13]
	v_add_f64 v[154:155], v[154:155], v[36:37]
	v_mul_f64 v[36:37], v[243:244], s[44:45]
	s_delay_alu instid0(VALU_DEP_4) | instskip(SKIP_2) | instid1(VALU_DEP_3)
	v_fma_f64 v[182:183], v[233:234], s[2:3], v[172:173]
	v_fma_f64 v[14:15], v[233:234], s[2:3], -v[172:173]
	v_mul_f64 v[172:173], v[213:214], s[8:9]
	v_add_f64 v[6:7], v[182:183], v[6:7]
	v_mul_f64 v[182:183], v[251:252], s[10:11]
	s_delay_alu instid0(VALU_DEP_4) | instskip(NEXT) | instid1(VALU_DEP_4)
	v_add_f64 v[10:11], v[14:15], v[10:11]
	v_add_f64 v[172:173], v[172:173], v[20:21]
	scratch_load_b64 v[20:21], off, off offset:352 ; 8-byte Folded Reload
	v_fma_f64 v[184:185], v[227:228], s[2:3], -v[182:183]
	v_fma_f64 v[14:15], v[227:228], s[2:3], v[182:183]
	v_add_f64 v[168:169], v[172:173], v[170:171]
	v_mul_f64 v[182:183], v[227:228], s[22:23]
	v_mul_f64 v[170:171], v[235:236], s[26:27]
	v_mul_f64 v[172:173], v[213:214], s[20:21]
	v_add_f64 v[8:9], v[184:185], v[8:9]
	v_mul_f64 v[184:185], v[84:85], s[48:49]
	v_add_f64 v[12:13], v[14:15], v[12:13]
	v_add_f64 v[182:183], v[182:183], v[48:49]
	;; [unrolled: 1-line block ×4, first 2 shown]
	v_mul_f64 v[48:49], v[84:85], s[38:39]
	v_mul_f64 v[52:53], v[0:1], s[56:57]
	v_fma_f64 v[204:205], v[237:238], s[30:31], v[184:185]
	v_fma_f64 v[14:15], v[237:238], s[30:31], -v[184:185]
	v_mul_f64 v[184:185], v[84:85], s[36:37]
	s_delay_alu instid0(VALU_DEP_4) | instskip(NEXT) | instid1(VALU_DEP_4)
	v_fma_f64 v[54:55], v[245:246], s[26:27], -v[52:53]
	v_add_f64 v[6:7], v[204:205], v[6:7]
	v_mul_f64 v[204:205], v[80:81], s[48:49]
	v_add_f64 v[10:11], v[14:15], v[10:11]
	v_add_f64 v[184:185], v[58:59], -v[184:185]
	s_delay_alu instid0(VALU_DEP_3) | instskip(SKIP_2) | instid1(VALU_DEP_3)
	v_fma_f64 v[206:207], v[235:236], s[30:31], -v[204:205]
	v_fma_f64 v[14:15], v[235:236], s[30:31], v[204:205]
	v_mul_f64 v[204:205], v[82:83], s[48:49]
	v_add_f64 v[8:9], v[206:207], v[8:9]
	v_mul_f64 v[206:207], v[0:1], s[54:55]
	s_delay_alu instid0(VALU_DEP_4) | instskip(NEXT) | instid1(VALU_DEP_2)
	v_add_f64 v[12:13], v[14:15], v[12:13]
	v_fma_f64 v[208:209], v[245:246], s[8:9], v[206:207]
	v_fma_f64 v[14:15], v[245:246], s[8:9], -v[206:207]
	v_mul_f64 v[206:207], v[251:252], s[48:49]
	s_delay_alu instid0(VALU_DEP_3) | instskip(SKIP_1) | instid1(VALU_DEP_4)
	v_add_f64 v[6:7], v[208:209], v[6:7]
	v_mul_f64 v[208:209], v[90:91], s[54:55]
	v_add_f64 v[10:11], v[14:15], v[10:11]
	s_delay_alu instid0(VALU_DEP_2) | instskip(SKIP_1) | instid1(VALU_DEP_2)
	v_fma_f64 v[14:15], v[239:240], s[8:9], v[208:209]
	v_fma_f64 v[210:211], v[239:240], s[8:9], -v[208:209]
	v_add_f64 v[14:15], v[14:15], v[12:13]
	v_fma_f64 v[12:13], v[249:250], s[22:23], -v[223:224]
	s_delay_alu instid0(VALU_DEP_3) | instskip(SKIP_2) | instid1(VALU_DEP_4)
	v_add_f64 v[210:211], v[210:211], v[8:9]
	v_fma_f64 v[8:9], v[249:250], s[22:23], v[223:224]
	v_mul_f64 v[223:224], v[253:254], s[44:45]
	v_add_f64 v[12:13], v[12:13], v[10:11]
	v_add_f64 v[10:11], v[16:17], v[14:15]
	v_mul_f64 v[16:17], v[243:244], s[24:25]
	v_mul_f64 v[14:15], v[253:254], s[34:35]
	v_add_f64 v[8:9], v[8:9], v[6:7]
	v_fma_f64 v[6:7], v[247:248], s[22:23], -v[229:230]
	v_mul_f64 v[229:230], v[241:242], s[44:45]
	v_add_f64 v[16:17], v[40:41], -v[16:17]
	v_add_f64 v[14:15], v[50:51], -v[14:15]
	v_mul_f64 v[40:41], v[253:254], s[50:51]
	v_add_f64 v[6:7], v[6:7], v[210:211]
	v_fma_f64 v[50:51], v[237:238], s[28:29], -v[48:49]
	v_add_f64 v[16:17], v[16:17], v[18:19]
	v_add_f64 v[18:19], v[154:155], v[168:169]
	v_mul_f64 v[154:155], v[0:1], s[38:39]
	v_mul_f64 v[168:169], v[247:248], s[30:31]
	v_fma_f64 v[42:43], v[225:226], s[2:3], -v[40:41]
	v_add_f64 v[14:15], v[14:15], v[16:17]
	v_add_f64 v[16:17], v[152:153], v[18:19]
	v_mul_f64 v[18:19], v[239:240], s[28:29]
	v_add_f64 v[154:155], v[96:97], -v[154:155]
	v_mul_f64 v[152:153], v[88:89], s[48:49]
	v_add_f64 v[168:169], v[168:169], v[94:95]
	v_dual_mov_b32 v95, v47 :: v_dual_mov_b32 v94, v46
	v_dual_mov_b32 v93, v45 :: v_dual_mov_b32 v92, v44
	v_mul_f64 v[44:45], v[82:83], s[24:25]
	v_add_f64 v[14:15], v[174:175], v[14:15]
	v_add_f64 v[16:17], v[182:183], v[16:17]
	;; [unrolled: 1-line block ×3, first 2 shown]
	v_mul_f64 v[174:175], v[82:83], s[40:41]
	v_add_f64 v[152:153], v[110:111], -v[152:153]
	v_mul_f64 v[182:183], v[227:228], s[28:29]
	v_mul_f64 v[56:57], v[88:89], s[54:55]
	v_fma_f64 v[46:47], v[233:234], s[18:19], -v[44:45]
	v_add_f64 v[14:15], v[184:185], v[14:15]
	v_add_f64 v[16:17], v[170:171], v[16:17]
	v_mul_f64 v[184:185], v[84:85], s[44:45]
	v_mul_f64 v[170:171], v[217:218], s[26:27]
	s_waitcnt vmcnt(0)
	v_add_f64 v[174:175], v[20:21], -v[174:175]
	scratch_load_b64 v[20:21], off, off offset:360 ; 8-byte Folded Reload
	v_add_f64 v[182:183], v[182:183], v[112:113]
	v_dual_mov_b32 v112, v72 :: v_dual_mov_b32 v113, v73
	v_fma_f64 v[58:59], v[249:250], s[8:9], -v[56:57]
	v_add_f64 v[14:15], v[154:155], v[14:15]
	v_add_f64 v[16:17], v[18:19], v[16:17]
	scratch_load_b64 v[18:19], off, off offset:344 ; 8-byte Folded Reload
	v_add_f64 v[170:171], v[170:171], v[98:99]
	v_dual_mov_b32 v99, v77 :: v_dual_mov_b32 v98, v76
	v_dual_mov_b32 v97, v75 :: v_dual_mov_b32 v96, v74
	;; [unrolled: 1-line block ×4, first 2 shown]
	v_mul_f64 v[28:29], v[0:1], s[34:35]
	v_add_f64 v[154:155], v[152:153], v[14:15]
	v_add_f64 v[152:153], v[168:169], v[16:17]
	scratch_load_b64 v[16:17], off, off offset:384 ; 8-byte Folded Reload
	v_mul_f64 v[14:15], v[253:254], s[48:49]
	v_mul_f64 v[168:169], v[221:222], s[30:31]
	s_delay_alu instid0(VALU_DEP_1)
	v_add_f64 v[168:169], v[168:169], v[114:115]
	s_waitcnt vmcnt(2)
	v_add_f64 v[184:185], v[20:21], -v[184:185]
	scratch_load_b64 v[20:21], off, off offset:368 ; 8-byte Folded Reload
	s_waitcnt vmcnt(1)
	v_add_f64 v[14:15], v[16:17], -v[14:15]
	v_mul_f64 v[16:17], v[243:244], s[36:37]
	s_delay_alu instid0(VALU_DEP_1) | instskip(SKIP_1) | instid1(VALU_DEP_1)
	v_add_f64 v[16:17], v[18:19], -v[16:17]
	v_mul_f64 v[18:19], v[231:232], s[34:35]
	v_add_f64 v[18:19], v[108:109], -v[18:19]
	v_dual_mov_b32 v111, v71 :: v_dual_mov_b32 v110, v70
	v_dual_mov_b32 v109, v69 :: v_dual_mov_b32 v108, v68
	;; [unrolled: 1-line block ×4, first 2 shown]
	v_mul_f64 v[24:25], v[84:85], s[10:11]
	v_add_f64 v[18:19], v[18:19], v[156:157]
	v_add_f64 v[156:157], v[172:173], v[158:159]
	v_mul_f64 v[158:159], v[235:236], s[22:23]
	v_mul_f64 v[172:173], v[231:232], s[48:49]
	v_fma_f64 v[26:27], v[237:238], s[2:3], -v[24:25]
	v_add_f64 v[16:17], v[16:17], v[18:19]
	v_add_f64 v[18:19], v[170:171], v[156:157]
	v_mul_f64 v[156:157], v[0:1], s[42:43]
	v_add_f64 v[158:159], v[158:159], v[116:117]
	v_dual_mov_b32 v117, v103 :: v_dual_mov_b32 v116, v102
	v_dual_mov_b32 v115, v101 :: v_dual_mov_b32 v114, v100
	;; [unrolled: 1-line block ×4, first 2 shown]
	v_mul_f64 v[60:61], v[88:89], s[36:37]
	v_add_f64 v[14:15], v[14:15], v[16:17]
	v_add_f64 v[16:17], v[168:169], v[18:19]
	v_mul_f64 v[18:19], v[239:240], s[18:19]
	v_mul_f64 v[168:169], v[88:89], s[50:51]
	v_fma_f64 v[62:63], v[249:250], s[26:27], -v[60:61]
	v_fma_f64 v[60:61], v[249:250], s[26:27], v[60:61]
	v_add_f64 v[14:15], v[174:175], v[14:15]
	v_add_f64 v[16:17], v[182:183], v[16:17]
	;; [unrolled: 1-line block ×3, first 2 shown]
	v_mul_f64 v[174:175], v[186:187], s[48:49]
	v_mul_f64 v[182:183], v[0:1], s[48:49]
	v_dual_mov_b32 v118, v78 :: v_dual_mov_b32 v119, v79
	v_dual_mov_b32 v79, v33 :: v_dual_mov_b32 v78, v32
	;; [unrolled: 1-line block ×3, first 2 shown]
	v_fma_f64 v[30:31], v[245:246], s[20:21], -v[28:29]
	v_mul_f64 v[32:33], v[88:89], s[38:39]
	v_mul_f64 v[0:1], v[0:1], s[10:11]
	;; [unrolled: 1-line block ×3, first 2 shown]
	s_waitcnt vmcnt(0)
	v_add_f64 v[156:157], v[20:21], -v[156:157]
	scratch_load_b64 v[20:21], off, off offset:376 ; 8-byte Folded Reload
	v_add_f64 v[14:15], v[184:185], v[14:15]
	v_add_f64 v[16:17], v[158:159], v[16:17]
	v_mul_f64 v[158:159], v[247:248], s[2:3]
	v_mul_f64 v[184:185], v[90:91], s[48:49]
	s_mov_b32 s49, 0x3fc7851a
	s_delay_alu instid0(SALU_CYCLE_1)
	v_mul_f64 v[208:209], v[243:244], s[48:49]
	v_mul_f64 v[210:211], v[194:195], s[48:49]
	v_fma_f64 v[34:35], v[249:250], s[28:29], -v[32:33]
	v_add_f64 v[14:15], v[156:157], v[14:15]
	v_add_f64 v[16:17], v[18:19], v[16:17]
	;; [unrolled: 1-line block ×3, first 2 shown]
	v_mul_f64 v[18:19], v[186:187], s[36:37]
	v_fma_f64 v[38:39], v[219:220], s[22:23], -v[36:37]
	v_fma_f64 v[36:37], v[219:220], s[22:23], v[36:37]
	s_delay_alu instid0(VALU_DEP_4) | instskip(SKIP_3) | instid1(VALU_DEP_2)
	v_add_f64 v[156:157], v[170:171], v[16:17]
	s_waitcnt vmcnt(0)
	v_add_f64 v[168:169], v[20:21], -v[168:169]
	v_mul_f64 v[20:21], v[82:83], s[54:55]
	v_add_f64 v[158:159], v[168:169], v[14:15]
	v_mul_f64 v[14:15], v[231:232], s[36:37]
	s_delay_alu instid0(VALU_DEP_3) | instskip(SKIP_1) | instid1(VALU_DEP_3)
	v_fma_f64 v[22:23], v[233:234], s[8:9], -v[20:21]
	v_fma_f64 v[20:21], v[233:234], s[8:9], v[20:21]
	v_fma_f64 v[16:17], v[215:216], s[26:27], -v[14:15]
	s_delay_alu instid0(VALU_DEP_1) | instskip(SKIP_1) | instid1(VALU_DEP_1)
	v_add_f64 v[16:17], v[16:17], v[160:161]
	v_fma_f64 v[160:161], v[213:214], s[26:27], v[18:19]
	v_add_f64 v[160:161], v[160:161], v[162:163]
	v_fma_f64 v[162:163], v[219:220], s[30:31], -v[208:209]
	s_delay_alu instid0(VALU_DEP_1) | instskip(SKIP_1) | instid1(VALU_DEP_1)
	v_add_f64 v[16:17], v[162:163], v[16:17]
	v_fma_f64 v[162:163], v[217:218], s[30:31], v[210:211]
	v_add_f64 v[160:161], v[162:163], v[160:161]
	v_fma_f64 v[162:163], v[225:226], s[22:23], -v[223:224]
	s_delay_alu instid0(VALU_DEP_1) | instskip(SKIP_1) | instid1(VALU_DEP_2)
	v_add_f64 v[16:17], v[162:163], v[16:17]
	v_fma_f64 v[162:163], v[221:222], s[22:23], v[229:230]
	v_add_f64 v[16:17], v[22:23], v[16:17]
	v_mul_f64 v[22:23], v[251:252], s[54:55]
	s_delay_alu instid0(VALU_DEP_3) | instskip(NEXT) | instid1(VALU_DEP_3)
	v_add_f64 v[160:161], v[162:163], v[160:161]
	v_add_f64 v[16:17], v[26:27], v[16:17]
	s_delay_alu instid0(VALU_DEP_3) | instskip(SKIP_2) | instid1(VALU_DEP_4)
	v_fma_f64 v[162:163], v[227:228], s[8:9], v[22:23]
	v_mul_f64 v[26:27], v[80:81], s[10:11]
	v_fma_f64 v[22:23], v[227:228], s[8:9], -v[22:23]
	v_add_f64 v[16:17], v[30:31], v[16:17]
	s_delay_alu instid0(VALU_DEP_4) | instskip(NEXT) | instid1(VALU_DEP_4)
	v_add_f64 v[160:161], v[162:163], v[160:161]
	v_fma_f64 v[162:163], v[235:236], s[2:3], v[26:27]
	v_mul_f64 v[30:31], v[90:91], s[34:35]
	s_delay_alu instid0(VALU_DEP_2) | instskip(NEXT) | instid1(VALU_DEP_2)
	v_add_f64 v[160:161], v[162:163], v[160:161]
	v_fma_f64 v[162:163], v[239:240], s[20:21], v[30:31]
	s_delay_alu instid0(VALU_DEP_1) | instskip(SKIP_2) | instid1(VALU_DEP_1)
	v_add_f64 v[160:161], v[162:163], v[160:161]
	v_add_f64 v[162:163], v[34:35], v[16:17]
	v_mul_f64 v[16:17], v[86:87], s[38:39]
	v_fma_f64 v[34:35], v[247:248], s[28:29], v[16:17]
	v_fma_f64 v[16:17], v[247:248], s[28:29], -v[16:17]
	s_delay_alu instid0(VALU_DEP_2) | instskip(SKIP_1) | instid1(VALU_DEP_1)
	v_add_f64 v[160:161], v[34:35], v[160:161]
	v_fma_f64 v[34:35], v[215:216], s[30:31], -v[172:173]
	v_add_f64 v[34:35], v[34:35], v[164:165]
	v_fma_f64 v[164:165], v[213:214], s[30:31], v[174:175]
	s_delay_alu instid0(VALU_DEP_2) | instskip(SKIP_1) | instid1(VALU_DEP_3)
	v_add_f64 v[34:35], v[38:39], v[34:35]
	v_mul_f64 v[38:39], v[194:195], s[44:45]
	v_add_f64 v[164:165], v[164:165], v[166:167]
	s_delay_alu instid0(VALU_DEP_3) | instskip(NEXT) | instid1(VALU_DEP_3)
	v_add_f64 v[34:35], v[42:43], v[34:35]
	v_fma_f64 v[166:167], v[217:218], s[22:23], v[38:39]
	v_mul_f64 v[42:43], v[241:242], s[50:51]
	s_delay_alu instid0(VALU_DEP_3) | instskip(NEXT) | instid1(VALU_DEP_3)
	v_add_f64 v[34:35], v[46:47], v[34:35]
	v_add_f64 v[164:165], v[166:167], v[164:165]
	s_delay_alu instid0(VALU_DEP_3) | instskip(SKIP_1) | instid1(VALU_DEP_4)
	v_fma_f64 v[166:167], v[221:222], s[2:3], v[42:43]
	v_mul_f64 v[46:47], v[251:252], s[24:25]
	v_add_f64 v[34:35], v[50:51], v[34:35]
	v_mul_f64 v[50:51], v[80:81], s[38:39]
	s_delay_alu instid0(VALU_DEP_4) | instskip(NEXT) | instid1(VALU_DEP_4)
	v_add_f64 v[164:165], v[166:167], v[164:165]
	v_fma_f64 v[166:167], v[227:228], s[18:19], v[46:47]
	s_delay_alu instid0(VALU_DEP_4) | instskip(SKIP_2) | instid1(VALU_DEP_4)
	v_add_f64 v[34:35], v[54:55], v[34:35]
	v_mul_f64 v[54:55], v[90:91], s[56:57]
	v_mul_f64 v[90:91], v[90:91], s[10:11]
	v_add_f64 v[164:165], v[166:167], v[164:165]
	v_fma_f64 v[166:167], v[235:236], s[28:29], v[50:51]
	s_delay_alu instid0(VALU_DEP_1) | instskip(SKIP_1) | instid1(VALU_DEP_1)
	v_add_f64 v[164:165], v[166:167], v[164:165]
	v_fma_f64 v[166:167], v[239:240], s[26:27], v[54:55]
	v_add_f64 v[164:165], v[166:167], v[164:165]
	v_add_f64 v[166:167], v[58:59], v[34:35]
	v_mul_f64 v[34:35], v[86:87], s[54:55]
	s_delay_alu instid0(VALU_DEP_1) | instskip(SKIP_1) | instid1(VALU_DEP_2)
	v_fma_f64 v[58:59], v[247:248], s[8:9], v[34:35]
	v_fma_f64 v[34:35], v[247:248], s[8:9], -v[34:35]
	v_add_f64 v[164:165], v[58:59], v[164:165]
	v_mul_f64 v[58:59], v[231:232], s[40:41]
	s_delay_alu instid0(VALU_DEP_1) | instskip(SKIP_1) | instid1(VALU_DEP_2)
	v_fma_f64 v[168:169], v[215:216], s[28:29], -v[58:59]
	v_fma_f64 v[58:59], v[215:216], s[28:29], v[58:59]
	v_add_f64 v[168:169], v[168:169], v[200:201]
	v_mul_f64 v[200:201], v[186:187], s[40:41]
	s_delay_alu instid0(VALU_DEP_1) | instskip(NEXT) | instid1(VALU_DEP_1)
	v_fma_f64 v[170:171], v[213:214], s[28:29], v[200:201]
	v_add_f64 v[170:171], v[170:171], v[178:179]
	v_mul_f64 v[178:179], v[243:244], s[54:55]
	s_delay_alu instid0(VALU_DEP_1) | instskip(NEXT) | instid1(VALU_DEP_1)
	v_fma_f64 v[192:193], v[219:220], s[8:9], -v[178:179]
	v_add_f64 v[168:169], v[192:193], v[168:169]
	v_mul_f64 v[192:193], v[194:195], s[54:55]
	s_delay_alu instid0(VALU_DEP_1) | instskip(NEXT) | instid1(VALU_DEP_1)
	v_fma_f64 v[180:181], v[217:218], s[8:9], v[192:193]
	v_add_f64 v[170:171], v[180:181], v[170:171]
	v_mul_f64 v[180:181], v[253:254], s[24:25]
	s_delay_alu instid0(VALU_DEP_1) | instskip(NEXT) | instid1(VALU_DEP_1)
	v_fma_f64 v[190:191], v[225:226], s[18:19], -v[180:181]
	v_add_f64 v[168:169], v[190:191], v[168:169]
	v_mul_f64 v[190:191], v[241:242], s[24:25]
	v_mul_f64 v[241:242], v[241:242], s[38:39]
	s_delay_alu instid0(VALU_DEP_2) | instskip(NEXT) | instid1(VALU_DEP_1)
	v_fma_f64 v[202:203], v[221:222], s[18:19], v[190:191]
	v_add_f64 v[170:171], v[202:203], v[170:171]
	v_fma_f64 v[202:203], v[233:234], s[30:31], -v[204:205]
	s_delay_alu instid0(VALU_DEP_1) | instskip(SKIP_1) | instid1(VALU_DEP_1)
	v_add_f64 v[168:169], v[202:203], v[168:169]
	v_fma_f64 v[202:203], v[227:228], s[30:31], v[206:207]
	v_add_f64 v[170:171], v[202:203], v[170:171]
	v_mul_f64 v[202:203], v[84:85], s[52:53]
	v_mul_f64 v[84:85], v[84:85], s[16:17]
	s_delay_alu instid0(VALU_DEP_2) | instskip(NEXT) | instid1(VALU_DEP_1)
	v_fma_f64 v[188:189], v[237:238], s[20:21], -v[202:203]
	v_add_f64 v[168:169], v[188:189], v[168:169]
	v_mul_f64 v[188:189], v[80:81], s[52:53]
	s_delay_alu instid0(VALU_DEP_1) | instskip(NEXT) | instid1(VALU_DEP_1)
	v_fma_f64 v[198:199], v[235:236], s[20:21], v[188:189]
	v_add_f64 v[170:171], v[198:199], v[170:171]
	v_fma_f64 v[198:199], v[245:246], s[2:3], -v[0:1]
	v_fma_f64 v[0:1], v[245:246], s[2:3], v[0:1]
	s_delay_alu instid0(VALU_DEP_2) | instskip(SKIP_1) | instid1(VALU_DEP_1)
	v_add_f64 v[168:169], v[198:199], v[168:169]
	v_fma_f64 v[198:199], v[239:240], s[2:3], v[90:91]
	v_add_f64 v[198:199], v[198:199], v[170:171]
	s_delay_alu instid0(VALU_DEP_3) | instskip(SKIP_2) | instid1(VALU_DEP_2)
	v_add_f64 v[170:171], v[62:63], v[168:169]
	v_mul_f64 v[62:63], v[86:87], s[36:37]
	v_mul_f64 v[86:87], v[86:87], s[42:43]
	v_fma_f64 v[168:169], v[247:248], s[26:27], v[62:63]
	v_fma_f64 v[62:63], v[247:248], s[26:27], -v[62:63]
	s_delay_alu instid0(VALU_DEP_2) | instskip(SKIP_1) | instid1(VALU_DEP_1)
	v_add_f64 v[168:169], v[168:169], v[198:199]
	v_mul_f64 v[198:199], v[231:232], s[44:45]
	v_fma_f64 v[231:232], v[215:216], s[22:23], -v[198:199]
	s_delay_alu instid0(VALU_DEP_1) | instskip(SKIP_1) | instid1(VALU_DEP_1)
	v_add_f64 v[196:197], v[231:232], v[196:197]
	v_mul_f64 v[231:232], v[186:187], s[44:45]
	v_fma_f64 v[186:187], v[213:214], s[22:23], v[231:232]
	s_delay_alu instid0(VALU_DEP_1) | instskip(SKIP_1) | instid1(VALU_DEP_1)
	v_add_f64 v[176:177], v[186:187], v[176:177]
	v_mul_f64 v[186:187], v[243:244], s[10:11]
	v_fma_f64 v[243:244], v[219:220], s[2:3], -v[186:187]
	v_fma_f64 v[186:187], v[219:220], s[2:3], v[186:187]
	s_delay_alu instid0(VALU_DEP_2) | instskip(SKIP_1) | instid1(VALU_DEP_1)
	v_add_f64 v[196:197], v[243:244], v[196:197]
	v_mul_f64 v[243:244], v[194:195], s[10:11]
	v_fma_f64 v[194:195], v[217:218], s[2:3], v[243:244]
	s_delay_alu instid0(VALU_DEP_1) | instskip(SKIP_1) | instid1(VALU_DEP_1)
	v_add_f64 v[176:177], v[194:195], v[176:177]
	v_mul_f64 v[194:195], v[253:254], s[38:39]
	v_fma_f64 v[253:254], v[225:226], s[28:29], -v[194:195]
	v_fma_f64 v[194:195], v[225:226], s[28:29], v[194:195]
	s_delay_alu instid0(VALU_DEP_2) | instskip(SKIP_1) | instid1(VALU_DEP_1)
	v_add_f64 v[196:197], v[253:254], v[196:197]
	v_fma_f64 v[253:254], v[221:222], s[28:29], v[241:242]
	v_add_f64 v[176:177], v[253:254], v[176:177]
	v_mul_f64 v[253:254], v[82:83], s[52:53]
	s_delay_alu instid0(VALU_DEP_1) | instskip(NEXT) | instid1(VALU_DEP_1)
	v_fma_f64 v[82:83], v[233:234], s[20:21], -v[253:254]
	v_add_f64 v[82:83], v[82:83], v[196:197]
	v_mul_f64 v[196:197], v[251:252], s[52:53]
	s_delay_alu instid0(VALU_DEP_1) | instskip(NEXT) | instid1(VALU_DEP_1)
	v_fma_f64 v[251:252], v[227:228], s[20:21], v[196:197]
	v_add_f64 v[176:177], v[251:252], v[176:177]
	v_fma_f64 v[251:252], v[237:238], s[8:9], -v[84:85]
	v_fma_f64 v[84:85], v[237:238], s[8:9], v[84:85]
	s_delay_alu instid0(VALU_DEP_2) | instskip(SKIP_1) | instid1(VALU_DEP_1)
	v_add_f64 v[82:83], v[251:252], v[82:83]
	v_mul_f64 v[251:252], v[80:81], s[16:17]
	v_fma_f64 v[80:81], v[235:236], s[8:9], v[251:252]
	s_delay_alu instid0(VALU_DEP_1) | instskip(SKIP_2) | instid1(VALU_DEP_2)
	v_add_f64 v[80:81], v[80:81], v[176:177]
	v_fma_f64 v[176:177], v[245:246], s[30:31], -v[182:183]
	v_fma_f64 v[182:183], v[245:246], s[30:31], v[182:183]
	v_add_f64 v[82:83], v[176:177], v[82:83]
	v_fma_f64 v[176:177], v[239:240], s[30:31], v[184:185]
	s_delay_alu instid0(VALU_DEP_1) | instskip(SKIP_2) | instid1(VALU_DEP_2)
	v_add_f64 v[80:81], v[176:177], v[80:81]
	v_fma_f64 v[176:177], v[249:250], s[18:19], -v[88:89]
	v_fma_f64 v[88:89], v[249:250], s[18:19], v[88:89]
	v_add_f64 v[82:83], v[176:177], v[82:83]
	v_fma_f64 v[176:177], v[247:248], s[18:19], v[86:87]
	s_delay_alu instid0(VALU_DEP_1)
	v_add_f64 v[80:81], v[176:177], v[80:81]
	v_fma_f64 v[176:177], v[215:216], s[22:23], v[198:199]
	scratch_load_b64 v[198:199], off, off offset:448 ; 8-byte Folded Reload
	s_waitcnt vmcnt(0)
	v_add_f64 v[176:177], v[176:177], v[198:199]
	v_fma_f64 v[198:199], v[213:214], s[22:23], -v[231:232]
	scratch_load_b64 v[231:232], off, off offset:440 ; 8-byte Folded Reload
	v_add_f64 v[176:177], v[186:187], v[176:177]
	v_fma_f64 v[186:187], v[217:218], s[2:3], -v[243:244]
	s_delay_alu instid0(VALU_DEP_2) | instskip(SKIP_3) | instid1(VALU_DEP_1)
	v_add_f64 v[176:177], v[194:195], v[176:177]
	v_fma_f64 v[194:195], v[221:222], s[28:29], -v[241:242]
	s_waitcnt vmcnt(0)
	v_add_f64 v[198:199], v[198:199], v[231:232]
	v_add_f64 v[186:187], v[186:187], v[198:199]
	s_delay_alu instid0(VALU_DEP_1) | instskip(SKIP_1) | instid1(VALU_DEP_1)
	v_add_f64 v[186:187], v[194:195], v[186:187]
	v_fma_f64 v[194:195], v[233:234], s[20:21], v[253:254]
	v_add_f64 v[176:177], v[194:195], v[176:177]
	v_fma_f64 v[194:195], v[227:228], s[20:21], -v[196:197]
	s_delay_alu instid0(VALU_DEP_2) | instskip(NEXT) | instid1(VALU_DEP_2)
	v_add_f64 v[84:85], v[84:85], v[176:177]
	v_add_f64 v[186:187], v[194:195], v[186:187]
	v_fma_f64 v[176:177], v[235:236], s[8:9], -v[251:252]
	s_delay_alu instid0(VALU_DEP_3) | instskip(SKIP_1) | instid1(VALU_DEP_3)
	v_add_f64 v[84:85], v[182:183], v[84:85]
	v_fma_f64 v[182:183], v[239:240], s[30:31], -v[184:185]
	v_add_f64 v[176:177], v[176:177], v[186:187]
	s_delay_alu instid0(VALU_DEP_1)
	v_add_f64 v[176:177], v[182:183], v[176:177]
	v_fma_f64 v[182:183], v[247:248], s[18:19], -v[86:87]
	v_add_f64 v[86:87], v[88:89], v[84:85]
	scratch_load_b64 v[88:89], off, off offset:432 ; 8-byte Folded Reload
	v_add_f64 v[84:85], v[182:183], v[176:177]
	scratch_load_b64 v[176:177], off, off offset:424 ; 8-byte Folded Reload
	s_waitcnt vmcnt(1)
	v_add_f64 v[58:59], v[58:59], v[88:89]
	v_fma_f64 v[88:89], v[213:214], s[28:29], -v[200:201]
	s_waitcnt vmcnt(0)
	s_delay_alu instid0(VALU_DEP_1) | instskip(SKIP_1) | instid1(VALU_DEP_1)
	v_add_f64 v[88:89], v[88:89], v[176:177]
	v_fma_f64 v[176:177], v[219:220], s[8:9], v[178:179]
	v_add_f64 v[58:59], v[176:177], v[58:59]
	v_fma_f64 v[176:177], v[217:218], s[8:9], -v[192:193]
	s_delay_alu instid0(VALU_DEP_1) | instskip(SKIP_1) | instid1(VALU_DEP_1)
	v_add_f64 v[88:89], v[176:177], v[88:89]
	v_fma_f64 v[176:177], v[225:226], s[18:19], v[180:181]
	v_add_f64 v[58:59], v[176:177], v[58:59]
	v_fma_f64 v[176:177], v[221:222], s[18:19], -v[190:191]
	;; [unrolled: 5-line block ×4, first 2 shown]
	s_delay_alu instid0(VALU_DEP_2) | instskip(NEXT) | instid1(VALU_DEP_2)
	v_add_f64 v[0:1], v[0:1], v[58:59]
	v_add_f64 v[88:89], v[176:177], v[88:89]
	v_fma_f64 v[58:59], v[239:240], s[2:3], -v[90:91]
	s_delay_alu instid0(VALU_DEP_3) | instskip(SKIP_1) | instid1(VALU_DEP_3)
	v_add_f64 v[90:91], v[60:61], v[0:1]
	v_fma_f64 v[0:1], v[215:216], s[30:31], v[172:173]
	v_add_f64 v[58:59], v[58:59], v[88:89]
	s_delay_alu instid0(VALU_DEP_1)
	v_add_f64 v[88:89], v[62:63], v[58:59]
	scratch_load_b64 v[58:59], off, off offset:416 ; 8-byte Folded Reload
	v_dual_mov_b32 v60, v100 :: v_dual_mov_b32 v61, v101
	v_dual_mov_b32 v62, v102 :: v_dual_mov_b32 v63, v103
	;; [unrolled: 1-line block ×4, first 2 shown]
	scratch_load_b64 v[114:115], off, off offset:408 ; 8-byte Folded Reload
	s_waitcnt vmcnt(1)
	v_add_f64 v[0:1], v[0:1], v[58:59]
	v_fma_f64 v[58:59], v[213:214], s[30:31], -v[174:175]
	s_delay_alu instid0(VALU_DEP_2) | instskip(SKIP_1) | instid1(VALU_DEP_2)
	v_add_f64 v[0:1], v[36:37], v[0:1]
	s_waitcnt vmcnt(0)
	v_add_f64 v[58:59], v[58:59], v[114:115]
	v_fma_f64 v[36:37], v[217:218], s[22:23], -v[38:39]
	v_fma_f64 v[38:39], v[225:226], s[2:3], v[40:41]
	s_delay_alu instid0(VALU_DEP_2) | instskip(NEXT) | instid1(VALU_DEP_2)
	v_add_f64 v[36:37], v[36:37], v[58:59]
	v_add_f64 v[0:1], v[38:39], v[0:1]
	v_fma_f64 v[38:39], v[221:222], s[2:3], -v[42:43]
	s_delay_alu instid0(VALU_DEP_1) | instskip(SKIP_1) | instid1(VALU_DEP_1)
	v_add_f64 v[36:37], v[38:39], v[36:37]
	v_fma_f64 v[38:39], v[233:234], s[18:19], v[44:45]
	v_add_f64 v[0:1], v[38:39], v[0:1]
	v_fma_f64 v[38:39], v[227:228], s[18:19], -v[46:47]
	v_dual_mov_b32 v44, v92 :: v_dual_mov_b32 v45, v93
	v_dual_mov_b32 v46, v94 :: v_dual_mov_b32 v47, v95
	s_delay_alu instid0(VALU_DEP_3) | instskip(SKIP_1) | instid1(VALU_DEP_1)
	v_add_f64 v[36:37], v[38:39], v[36:37]
	v_fma_f64 v[38:39], v[237:238], s[28:29], v[48:49]
	v_add_f64 v[0:1], v[38:39], v[0:1]
	v_fma_f64 v[38:39], v[235:236], s[28:29], -v[50:51]
	s_delay_alu instid0(VALU_DEP_1) | instskip(SKIP_1) | instid1(VALU_DEP_1)
	v_add_f64 v[36:37], v[38:39], v[36:37]
	v_fma_f64 v[38:39], v[245:246], s[26:27], v[52:53]
	v_add_f64 v[0:1], v[38:39], v[0:1]
	v_fma_f64 v[38:39], v[239:240], s[26:27], -v[54:55]
	s_delay_alu instid0(VALU_DEP_1) | instskip(SKIP_1) | instid1(VALU_DEP_2)
	v_add_f64 v[36:37], v[38:39], v[36:37]
	v_fma_f64 v[38:39], v[249:250], s[8:9], v[56:57]
	v_add_f64 v[172:173], v[34:35], v[36:37]
	s_clause 0x1
	scratch_load_b64 v[34:35], off, off offset:400
	scratch_load_b64 v[36:37], off, off offset:392
	v_add_f64 v[174:175], v[38:39], v[0:1]
	v_fma_f64 v[0:1], v[215:216], s[26:27], v[14:15]
	v_fma_f64 v[14:15], v[213:214], s[26:27], -v[18:19]
	v_fma_f64 v[18:19], v[219:220], s[30:31], v[208:209]
	s_waitcnt vmcnt(1)
	s_delay_alu instid0(VALU_DEP_3) | instskip(SKIP_2) | instid1(VALU_DEP_4)
	v_add_f64 v[0:1], v[0:1], v[34:35]
	v_fma_f64 v[34:35], v[217:218], s[30:31], -v[210:211]
	s_waitcnt vmcnt(0)
	v_add_f64 v[14:15], v[14:15], v[36:37]
	v_fma_f64 v[36:37], v[225:226], s[22:23], v[223:224]
	v_dual_mov_b32 v224, v66 :: v_dual_mov_b32 v223, v64
	v_add_f64 v[0:1], v[18:19], v[0:1]
	v_fma_f64 v[18:19], v[221:222], s[22:23], -v[229:230]
	v_add_f64 v[14:15], v[34:35], v[14:15]
	v_dual_mov_b32 v230, v67 :: v_dual_mov_b32 v229, v65
	v_dual_mov_b32 v64, v104 :: v_dual_mov_b32 v65, v105
	;; [unrolled: 1-line block ×3, first 2 shown]
	v_add_f64 v[0:1], v[36:37], v[0:1]
	v_add_f64 v[14:15], v[18:19], v[14:15]
	v_fma_f64 v[18:19], v[237:238], s[2:3], v[24:25]
	s_delay_alu instid0(VALU_DEP_3) | instskip(SKIP_1) | instid1(VALU_DEP_4)
	v_add_f64 v[0:1], v[20:21], v[0:1]
	v_fma_f64 v[20:21], v[235:236], s[2:3], -v[26:27]
	v_add_f64 v[14:15], v[22:23], v[14:15]
	v_fma_f64 v[22:23], v[245:246], s[20:21], v[28:29]
	v_dual_mov_b32 v26, v72 :: v_dual_mov_b32 v27, v73
	v_dual_mov_b32 v28, v74 :: v_dual_mov_b32 v29, v75
	;; [unrolled: 1-line block ×3, first 2 shown]
	v_add_f64 v[0:1], v[18:19], v[0:1]
	v_fma_f64 v[18:19], v[239:240], s[20:21], -v[30:31]
	v_add_f64 v[14:15], v[20:21], v[14:15]
	v_fma_f64 v[20:21], v[249:250], s[28:29], v[32:33]
	v_dual_mov_b32 v30, v76 :: v_dual_mov_b32 v31, v77
	v_dual_mov_b32 v32, v78 :: v_dual_mov_b32 v33, v79
	;; [unrolled: 1-line block ×5, first 2 shown]
	v_add_f64 v[0:1], v[22:23], v[0:1]
	v_dual_mov_b32 v22, v68 :: v_dual_mov_b32 v23, v69
	v_add_f64 v[14:15], v[18:19], v[14:15]
	v_dual_mov_b32 v24, v70 :: v_dual_mov_b32 v25, v71
	v_dual_mov_b32 v68, v108 :: v_dual_mov_b32 v69, v109
	;; [unrolled: 1-line block ×3, first 2 shown]
	v_add_f64 v[178:179], v[20:21], v[0:1]
	v_mul_lo_u16 v0, v224, 17
	v_add_f64 v[176:177], v[16:17], v[14:15]
	s_delay_alu instid0(VALU_DEP_2) | instskip(NEXT) | instid1(VALU_DEP_1)
	v_and_b32_e32 v0, 0xffff, v0
	v_lshl_add_u32 v0, v0, 4, v230
	ds_store_b128 v0, v[136:139]
	ds_store_b128 v0, v[152:155] offset:16
	ds_store_b128 v0, v[156:159] offset:32
	;; [unrolled: 1-line block ×16, first 2 shown]
.LBB0_17:
	s_or_b32 exec_lo, exec_lo, s1
	s_waitcnt lgkmcnt(0)
	s_waitcnt_vscnt null, 0x0
	s_barrier
	buffer_gl0_inv
	ds_load_b128 v[152:155], v255
	ds_load_b128 v[140:143], v255 offset:1360
	ds_load_b128 v[192:195], v255 offset:8704
	;; [unrolled: 1-line block ×14, first 2 shown]
	s_and_saveexec_b32 s1, s0
	s_cbranch_execz .LBB0_19
; %bb.18:
	ds_load_b128 v[144:147], v255 offset:4080
	ds_load_b128 v[148:151], v255 offset:8432
	;; [unrolled: 1-line block ×3, first 2 shown]
	s_waitcnt lgkmcnt(0)
	scratch_store_b128 off, v[0:3], off offset:16 ; 16-byte Folded Spill
	ds_load_b128 v[100:103], v255 offset:17136
	ds_load_b128 v[0:3], v255 offset:21488
	s_waitcnt lgkmcnt(0)
	scratch_store_b128 off, v[0:3], off     ; 16-byte Folded Spill
.LBB0_19:
	s_or_b32 exec_lo, exec_lo, s1
	s_clause 0x1
	scratch_load_b128 v[2:5], off, off offset:32
	scratch_load_b128 v[12:15], off, off offset:128
	s_mov_b32 s10, 0x134454ff
	s_mov_b32 s11, 0xbfee6f0e
	;; [unrolled: 1-line block ×10, first 2 shown]
	s_waitcnt vmcnt(1) lgkmcnt(8)
	v_mul_f64 v[0:1], v[4:5], v[202:203]
	s_delay_alu instid0(VALU_DEP_1) | instskip(SKIP_1) | instid1(VALU_DEP_1)
	v_fma_f64 v[36:37], v[2:3], v[200:201], v[0:1]
	v_mul_f64 v[0:1], v[4:5], v[200:201]
	v_fma_f64 v[38:39], v[2:3], v[202:203], -v[0:1]
	scratch_load_b128 v[2:5], off, off offset:48 ; 16-byte Folded Reload
	s_waitcnt vmcnt(0)
	v_mul_f64 v[0:1], v[4:5], v[194:195]
	s_delay_alu instid0(VALU_DEP_1) | instskip(SKIP_3) | instid1(VALU_DEP_2)
	v_fma_f64 v[40:41], v[2:3], v[192:193], v[0:1]
	v_mul_f64 v[0:1], v[4:5], v[192:193]
	s_waitcnt lgkmcnt(3)
	v_mul_f64 v[4:5], v[66:67], v[166:167]
	v_fma_f64 v[42:43], v[2:3], v[194:195], -v[0:1]
	v_mul_f64 v[0:1], v[28:29], v[190:191]
	s_delay_alu instid0(VALU_DEP_3) | instskip(SKIP_2) | instid1(VALU_DEP_4)
	v_fma_f64 v[6:7], v[64:65], v[164:165], v[4:5]
	v_mul_f64 v[4:5], v[66:67], v[164:165]
	v_mul_f64 v[2:3], v[70:71], v[168:169]
	v_fma_f64 v[48:49], v[26:27], v[188:189], v[0:1]
	v_mul_f64 v[0:1], v[28:29], v[188:189]
	s_delay_alu instid0(VALU_DEP_4)
	v_fma_f64 v[10:11], v[64:65], v[166:167], -v[4:5]
	s_waitcnt lgkmcnt(1)
	v_mul_f64 v[4:5], v[14:15], v[162:163]
	v_fma_f64 v[2:3], v[68:69], v[170:171], -v[2:3]
	v_add_f64 v[66:67], v[36:37], -v[48:49]
	v_fma_f64 v[50:51], v[26:27], v[190:191], -v[0:1]
	v_mul_f64 v[0:1], v[24:25], v[198:199]
	v_fma_f64 v[8:9], v[12:13], v[160:161], v[4:5]
	v_mul_f64 v[4:5], v[14:15], v[160:161]
	s_delay_alu instid0(VALU_DEP_3) | instskip(SKIP_1) | instid1(VALU_DEP_3)
	v_fma_f64 v[52:53], v[22:23], v[196:197], v[0:1]
	v_mul_f64 v[0:1], v[24:25], v[196:197]
	v_fma_f64 v[4:5], v[12:13], v[162:163], -v[4:5]
	s_delay_alu instid0(VALU_DEP_3) | instskip(NEXT) | instid1(VALU_DEP_3)
	v_add_f64 v[14:15], v[52:53], -v[48:49]
	v_fma_f64 v[56:57], v[22:23], v[198:199], -v[0:1]
	v_mul_f64 v[0:1], v[32:33], v[186:187]
	v_add_f64 v[64:65], v[40:41], -v[52:53]
	s_delay_alu instid0(VALU_DEP_2) | instskip(SKIP_1) | instid1(VALU_DEP_1)
	v_fma_f64 v[20:21], v[30:31], v[184:185], v[0:1]
	v_mul_f64 v[0:1], v[32:33], v[184:185]
	v_fma_f64 v[22:23], v[30:31], v[186:187], -v[0:1]
	v_mul_f64 v[0:1], v[46:47], v[178:179]
	s_delay_alu instid0(VALU_DEP_1) | instskip(SKIP_1) | instid1(VALU_DEP_1)
	v_fma_f64 v[26:27], v[44:45], v[176:177], v[0:1]
	v_mul_f64 v[0:1], v[46:47], v[176:177]
	v_fma_f64 v[30:31], v[44:45], v[178:179], -v[0:1]
	scratch_load_b128 v[44:47], off, off offset:144 ; 16-byte Folded Reload
	v_mul_f64 v[0:1], v[76:77], v[182:183]
	s_waitcnt vmcnt(0) lgkmcnt(0)
	s_waitcnt_vscnt null, 0x0
	s_barrier
	buffer_gl0_inv
	v_fma_f64 v[28:29], v[74:75], v[180:181], v[0:1]
	v_mul_f64 v[0:1], v[76:77], v[180:181]
	s_delay_alu instid0(VALU_DEP_1) | instskip(SKIP_1) | instid1(VALU_DEP_1)
	v_fma_f64 v[24:25], v[74:75], v[182:183], -v[0:1]
	v_mul_f64 v[0:1], v[62:63], v[174:175]
	v_fma_f64 v[32:33], v[60:61], v[172:173], v[0:1]
	v_mul_f64 v[0:1], v[62:63], v[172:173]
	v_add_f64 v[62:63], v[38:39], -v[50:51]
	s_delay_alu instid0(VALU_DEP_2) | instskip(SKIP_3) | instid1(VALU_DEP_2)
	v_fma_f64 v[34:35], v[60:61], v[174:175], -v[0:1]
	v_add_f64 v[60:61], v[42:43], -v[56:57]
	v_mul_f64 v[0:1], v[70:71], v[170:171]
	v_add_f64 v[70:71], v[154:155], v[38:39]
	v_fma_f64 v[0:1], v[68:69], v[168:169], v[0:1]
	v_mul_f64 v[12:13], v[46:47], v[158:159]
	s_delay_alu instid0(VALU_DEP_1) | instskip(SKIP_1) | instid1(VALU_DEP_1)
	v_fma_f64 v[16:17], v[44:45], v[156:157], v[12:13]
	v_mul_f64 v[12:13], v[46:47], v[156:157]
	v_fma_f64 v[18:19], v[44:45], v[158:159], -v[12:13]
	v_add_f64 v[12:13], v[40:41], -v[36:37]
	s_delay_alu instid0(VALU_DEP_1) | instskip(SKIP_2) | instid1(VALU_DEP_1)
	v_add_f64 v[44:45], v[12:13], v[14:15]
	v_add_f64 v[12:13], v[42:43], -v[38:39]
	v_add_f64 v[14:15], v[56:57], -v[50:51]
	v_add_f64 v[46:47], v[12:13], v[14:15]
	v_add_f64 v[12:13], v[36:37], v[48:49]
	s_delay_alu instid0(VALU_DEP_1) | instskip(SKIP_2) | instid1(VALU_DEP_2)
	v_fma_f64 v[54:55], v[12:13], -0.5, v[152:153]
	v_add_f64 v[12:13], v[38:39], v[50:51]
	v_add_f64 v[38:39], v[38:39], -v[42:43]
	v_fma_f64 v[58:59], v[12:13], -0.5, v[154:155]
	s_delay_alu instid0(VALU_DEP_4) | instskip(SKIP_1) | instid1(VALU_DEP_3)
	v_fma_f64 v[12:13], v[60:61], s[16:17], v[54:55]
	v_fma_f64 v[54:55], v[60:61], s[10:11], v[54:55]
	;; [unrolled: 1-line block ×3, first 2 shown]
	s_delay_alu instid0(VALU_DEP_3) | instskip(SKIP_1) | instid1(VALU_DEP_4)
	v_fma_f64 v[12:13], v[62:63], s[2:3], v[12:13]
	v_fma_f64 v[58:59], v[64:65], s[16:17], v[58:59]
	;; [unrolled: 1-line block ×3, first 2 shown]
	s_delay_alu instid0(VALU_DEP_4) | instskip(NEXT) | instid1(VALU_DEP_4)
	v_fma_f64 v[14:15], v[66:67], s[8:9], v[14:15]
	v_fma_f64 v[12:13], v[44:45], s[18:19], v[12:13]
	s_delay_alu instid0(VALU_DEP_4) | instskip(NEXT) | instid1(VALU_DEP_4)
	v_fma_f64 v[58:59], v[66:67], s[2:3], v[58:59]
	v_fma_f64 v[44:45], v[44:45], s[18:19], v[54:55]
	v_add_f64 v[54:55], v[40:41], v[52:53]
	v_fma_f64 v[14:15], v[46:47], s[18:19], v[14:15]
	s_delay_alu instid0(VALU_DEP_4) | instskip(NEXT) | instid1(VALU_DEP_3)
	v_fma_f64 v[46:47], v[46:47], s[18:19], v[58:59]
	v_fma_f64 v[58:59], v[54:55], -0.5, v[152:153]
	v_add_f64 v[54:55], v[42:43], v[56:57]
	s_delay_alu instid0(VALU_DEP_1) | instskip(SKIP_2) | instid1(VALU_DEP_2)
	v_fma_f64 v[68:69], v[54:55], -0.5, v[154:155]
	v_add_f64 v[54:55], v[152:153], v[36:37]
	v_add_f64 v[36:37], v[36:37], -v[40:41]
	v_add_f64 v[40:41], v[54:55], v[40:41]
	v_add_f64 v[54:55], v[70:71], v[42:43]
	v_add_f64 v[70:71], v[48:49], -v[52:53]
	s_delay_alu instid0(VALU_DEP_3) | instskip(NEXT) | instid1(VALU_DEP_3)
	v_add_f64 v[40:41], v[40:41], v[52:53]
	v_add_f64 v[42:43], v[54:55], v[56:57]
	s_delay_alu instid0(VALU_DEP_3) | instskip(NEXT) | instid1(VALU_DEP_3)
	v_add_f64 v[36:37], v[36:37], v[70:71]
	v_add_f64 v[52:53], v[40:41], v[48:49]
	s_delay_alu instid0(VALU_DEP_3)
	v_add_f64 v[54:55], v[42:43], v[50:51]
	v_add_f64 v[40:41], v[50:51], -v[56:57]
	v_fma_f64 v[42:43], v[62:63], s[10:11], v[58:59]
	v_fma_f64 v[48:49], v[62:63], s[16:17], v[58:59]
	;; [unrolled: 1-line block ×4, first 2 shown]
	v_add_f64 v[58:59], v[0:1], -v[16:17]
	v_add_f64 v[38:39], v[38:39], v[40:41]
	v_fma_f64 v[40:41], v[60:61], s[2:3], v[42:43]
	v_fma_f64 v[42:43], v[60:61], s[8:9], v[48:49]
	;; [unrolled: 1-line block ×4, first 2 shown]
	v_add_f64 v[56:57], v[26:27], -v[20:21]
	v_fma_f64 v[60:61], v[36:37], s[18:19], v[40:41]
	v_fma_f64 v[64:65], v[36:37], s[18:19], v[42:43]
	;; [unrolled: 1-line block ×4, first 2 shown]
	v_add_f64 v[48:49], v[22:23], -v[34:35]
	v_add_f64 v[50:51], v[30:31], -v[24:25]
	ds_store_b128 v73, v[52:55]
	ds_store_b128 v73, v[60:63] offset:272
	ds_store_b128 v73, v[12:15] offset:544
	;; [unrolled: 1-line block ×4, first 2 shown]
	v_add_f64 v[12:13], v[20:21], -v[26:27]
	v_add_f64 v[14:15], v[32:33], -v[28:29]
	v_add_f64 v[52:53], v[20:21], -v[32:33]
	v_add_f64 v[54:55], v[26:27], -v[28:29]
	v_add_f64 v[60:61], v[0:1], -v[6:7]
	s_delay_alu instid0(VALU_DEP_4) | instskip(SKIP_2) | instid1(VALU_DEP_1)
	v_add_f64 v[36:37], v[12:13], v[14:15]
	v_add_f64 v[12:13], v[22:23], -v[30:31]
	v_add_f64 v[14:15], v[34:35], -v[24:25]
	v_add_f64 v[38:39], v[12:13], v[14:15]
	v_add_f64 v[12:13], v[26:27], v[28:29]
	s_delay_alu instid0(VALU_DEP_1) | instskip(SKIP_1) | instid1(VALU_DEP_1)
	v_fma_f64 v[40:41], v[12:13], -0.5, v[140:141]
	v_add_f64 v[12:13], v[30:31], v[24:25]
	v_fma_f64 v[42:43], v[12:13], -0.5, v[142:143]
	s_delay_alu instid0(VALU_DEP_3) | instskip(SKIP_1) | instid1(VALU_DEP_3)
	v_fma_f64 v[12:13], v[48:49], s[10:11], v[40:41]
	v_fma_f64 v[40:41], v[48:49], s[16:17], v[40:41]
	;; [unrolled: 1-line block ×4, first 2 shown]
	s_delay_alu instid0(VALU_DEP_3) | instskip(SKIP_1) | instid1(VALU_DEP_4)
	v_fma_f64 v[40:41], v[50:51], s[8:9], v[40:41]
	v_fma_f64 v[12:13], v[50:51], s[2:3], v[12:13]
	;; [unrolled: 1-line block ×3, first 2 shown]
	s_delay_alu instid0(VALU_DEP_4) | instskip(NEXT) | instid1(VALU_DEP_4)
	v_fma_f64 v[42:43], v[54:55], s[2:3], v[42:43]
	v_fma_f64 v[44:45], v[36:37], s[18:19], v[40:41]
	v_add_f64 v[40:41], v[140:141], v[20:21]
	v_fma_f64 v[12:13], v[36:37], s[18:19], v[12:13]
	v_add_f64 v[36:37], v[20:21], v[32:33]
	v_fma_f64 v[14:15], v[38:39], s[18:19], v[14:15]
	v_fma_f64 v[46:47], v[38:39], s[18:19], v[42:43]
	v_add_f64 v[42:43], v[142:143], v[22:23]
	v_add_f64 v[38:39], v[22:23], v[34:35]
	v_add_f64 v[20:21], v[40:41], v[26:27]
	v_fma_f64 v[36:37], v[36:37], -0.5, v[140:141]
	s_delay_alu instid0(VALU_DEP_4) | instskip(NEXT) | instid1(VALU_DEP_4)
	v_add_f64 v[26:27], v[42:43], v[30:31]
	v_fma_f64 v[38:39], v[38:39], -0.5, v[142:143]
	v_add_f64 v[30:31], v[30:31], -v[22:23]
	v_add_f64 v[20:21], v[20:21], v[28:29]
	s_delay_alu instid0(VALU_DEP_4) | instskip(SKIP_2) | instid1(VALU_DEP_4)
	v_add_f64 v[22:23], v[26:27], v[24:25]
	v_add_f64 v[26:27], v[28:29], -v[32:33]
	v_add_f64 v[24:25], v[24:25], -v[34:35]
	v_add_f64 v[20:21], v[20:21], v[32:33]
	v_fma_f64 v[28:29], v[50:51], s[16:17], v[36:37]
	v_fma_f64 v[32:33], v[50:51], s[10:11], v[36:37]
	;; [unrolled: 1-line block ×3, first 2 shown]
	v_add_f64 v[50:51], v[2:3], -v[18:19]
	v_add_f64 v[22:23], v[22:23], v[34:35]
	v_fma_f64 v[34:35], v[54:55], s[10:11], v[38:39]
	v_add_f64 v[38:39], v[56:57], v[26:27]
	v_add_f64 v[30:31], v[30:31], v[24:25]
	v_fma_f64 v[24:25], v[48:49], s[2:3], v[28:29]
	v_fma_f64 v[28:29], v[48:49], s[8:9], v[32:33]
	;; [unrolled: 1-line block ×3, first 2 shown]
	v_add_f64 v[48:49], v[10:11], -v[4:5]
	v_add_f64 v[56:57], v[6:7], -v[8:9]
	v_fma_f64 v[26:27], v[52:53], s[8:9], v[34:35]
	v_add_f64 v[34:35], v[8:9], -v[16:17]
	v_fma_f64 v[24:25], v[38:39], s[18:19], v[24:25]
	v_fma_f64 v[28:29], v[38:39], s[18:19], v[28:29]
	s_delay_alu instid0(VALU_DEP_4) | instskip(SKIP_2) | instid1(VALU_DEP_1)
	v_fma_f64 v[26:27], v[30:31], s[18:19], v[26:27]
	v_fma_f64 v[30:31], v[30:31], s[18:19], v[32:33]
	v_add_f64 v[32:33], v[6:7], -v[0:1]
	v_add_f64 v[36:37], v[32:33], v[34:35]
	v_add_f64 v[32:33], v[10:11], -v[2:3]
	v_add_f64 v[34:35], v[4:5], -v[18:19]
	s_delay_alu instid0(VALU_DEP_1) | instskip(SKIP_1) | instid1(VALU_DEP_1)
	v_add_f64 v[38:39], v[32:33], v[34:35]
	v_add_f64 v[32:33], v[0:1], v[16:17]
	v_fma_f64 v[40:41], v[32:33], -0.5, v[136:137]
	v_add_f64 v[32:33], v[2:3], v[18:19]
	s_delay_alu instid0(VALU_DEP_1) | instskip(NEXT) | instid1(VALU_DEP_3)
	v_fma_f64 v[42:43], v[32:33], -0.5, v[138:139]
	v_fma_f64 v[32:33], v[48:49], s[16:17], v[40:41]
	v_fma_f64 v[40:41], v[48:49], s[10:11], v[40:41]
	s_delay_alu instid0(VALU_DEP_3) | instskip(SKIP_1) | instid1(VALU_DEP_3)
	v_fma_f64 v[34:35], v[56:57], s[10:11], v[42:43]
	v_fma_f64 v[42:43], v[56:57], s[16:17], v[42:43]
	;; [unrolled: 1-line block ×4, first 2 shown]
	s_delay_alu instid0(VALU_DEP_4) | instskip(NEXT) | instid1(VALU_DEP_4)
	v_fma_f64 v[34:35], v[58:59], s[8:9], v[34:35]
	v_fma_f64 v[42:43], v[58:59], s[2:3], v[42:43]
	s_delay_alu instid0(VALU_DEP_4)
	v_fma_f64 v[52:53], v[36:37], s[18:19], v[40:41]
	v_add_f64 v[40:41], v[136:137], v[0:1]
	v_fma_f64 v[32:33], v[36:37], s[18:19], v[32:33]
	v_add_f64 v[36:37], v[6:7], v[8:9]
	v_fma_f64 v[34:35], v[38:39], s[18:19], v[34:35]
	v_fma_f64 v[54:55], v[38:39], s[18:19], v[42:43]
	v_add_f64 v[42:43], v[138:139], v[2:3]
	v_add_f64 v[38:39], v[10:11], v[4:5]
	;; [unrolled: 1-line block ×3, first 2 shown]
	v_fma_f64 v[36:37], v[36:37], -0.5, v[136:137]
	s_delay_alu instid0(VALU_DEP_4) | instskip(NEXT) | instid1(VALU_DEP_4)
	v_add_f64 v[6:7], v[42:43], v[10:11]
	v_fma_f64 v[38:39], v[38:39], -0.5, v[138:139]
	v_add_f64 v[10:11], v[2:3], -v[10:11]
	v_add_f64 v[0:1], v[0:1], v[8:9]
	s_delay_alu instid0(VALU_DEP_4)
	v_add_f64 v[2:3], v[6:7], v[4:5]
	v_add_f64 v[6:7], v[16:17], -v[8:9]
	v_add_f64 v[4:5], v[18:19], -v[4:5]
	v_fma_f64 v[8:9], v[50:51], s[10:11], v[36:37]
	v_add_f64 v[0:1], v[0:1], v[16:17]
	v_fma_f64 v[16:17], v[50:51], s[16:17], v[36:37]
	v_fma_f64 v[36:37], v[58:59], s[10:11], v[38:39]
	v_add_f64 v[2:3], v[2:3], v[18:19]
	v_fma_f64 v[18:19], v[58:59], s[16:17], v[38:39]
	v_add_f64 v[38:39], v[60:61], v[6:7]
	v_add_f64 v[10:11], v[10:11], v[4:5]
	v_fma_f64 v[4:5], v[48:49], s[2:3], v[8:9]
	v_fma_f64 v[8:9], v[48:49], s[8:9], v[16:17]
	;; [unrolled: 1-line block ×4, first 2 shown]
	s_delay_alu instid0(VALU_DEP_4) | instskip(NEXT) | instid1(VALU_DEP_4)
	v_fma_f64 v[4:5], v[38:39], s[18:19], v[4:5]
	v_fma_f64 v[8:9], v[38:39], s[18:19], v[8:9]
	s_delay_alu instid0(VALU_DEP_3)
	v_fma_f64 v[6:7], v[10:11], s[18:19], v[6:7]
	v_fma_f64 v[10:11], v[10:11], s[18:19], v[16:17]
	ds_store_b128 v79, v[20:23]
	ds_store_b128 v79, v[12:15] offset:272
	ds_store_b128 v79, v[24:27] offset:544
	;; [unrolled: 1-line block ×4, first 2 shown]
	ds_store_b128 v78, v[0:3]
	ds_store_b128 v78, v[4:7] offset:272
	ds_store_b128 v78, v[32:35] offset:544
	;; [unrolled: 1-line block ×4, first 2 shown]
	s_and_saveexec_b32 s1, s0
	s_cbranch_execz .LBB0_21
; %bb.20:
	s_clause 0x5
	scratch_load_b128 v[20:23], off, off offset:296
	scratch_load_b128 v[36:39], off, off offset:16
	;; [unrolled: 1-line block ×4, first 2 shown]
	scratch_load_b128 v[32:35], off, off
	scratch_load_b128 v[24:27], off, off offset:312
	s_waitcnt vmcnt(4)
	v_mul_f64 v[0:1], v[22:23], v[36:37]
	s_waitcnt vmcnt(3)
	v_mul_f64 v[2:3], v[18:19], v[148:149]
	;; [unrolled: 2-line block ×4, first 2 shown]
	v_mul_f64 v[8:9], v[22:23], v[38:39]
	v_mul_f64 v[10:11], v[26:27], v[102:103]
	;; [unrolled: 1-line block ×4, first 2 shown]
	v_fma_f64 v[0:1], v[20:21], v[38:39], -v[0:1]
	v_fma_f64 v[2:3], v[16:17], v[150:151], -v[2:3]
	;; [unrolled: 1-line block ×4, first 2 shown]
	v_fma_f64 v[8:9], v[20:21], v[36:37], v[8:9]
	v_fma_f64 v[10:11], v[24:25], v[100:101], v[10:11]
	;; [unrolled: 1-line block ×4, first 2 shown]
	v_add_f64 v[28:29], v[146:147], v[2:3]
	v_add_f64 v[16:17], v[2:3], v[4:5]
	;; [unrolled: 1-line block ×3, first 2 shown]
	v_add_f64 v[32:33], v[2:3], -v[4:5]
	v_add_f64 v[20:21], v[8:9], v[10:11]
	v_add_f64 v[30:31], v[144:145], v[12:13]
	;; [unrolled: 1-line block ×3, first 2 shown]
	v_add_f64 v[24:25], v[8:9], -v[10:11]
	v_add_f64 v[26:27], v[12:13], -v[14:15]
	;; [unrolled: 1-line block ×11, first 2 shown]
	v_add_f64 v[0:1], v[28:29], v[0:1]
	v_fma_f64 v[16:17], v[16:17], -0.5, v[146:147]
	v_fma_f64 v[18:19], v[18:19], -0.5, v[146:147]
	;; [unrolled: 1-line block ×3, first 2 shown]
	v_add_f64 v[8:9], v[30:31], v[8:9]
	v_fma_f64 v[22:23], v[22:23], -0.5, v[144:145]
	v_add_f64 v[36:37], v[36:37], v[38:39]
	v_add_f64 v[38:39], v[2:3], v[40:41]
	v_add_f64 v[12:13], v[12:13], v[46:47]
	v_add_f64 v[40:41], v[42:43], v[44:45]
	v_add_f64 v[0:1], v[0:1], v[6:7]
	v_fma_f64 v[28:29], v[24:25], s[16:17], v[16:17]
	v_fma_f64 v[16:17], v[24:25], s[10:11], v[16:17]
	v_fma_f64 v[30:31], v[26:27], s[10:11], v[18:19]
	v_fma_f64 v[18:19], v[26:27], s[16:17], v[18:19]
	v_fma_f64 v[48:49], v[32:33], s[10:11], v[20:21]
	v_fma_f64 v[50:51], v[34:35], s[16:17], v[22:23]
	v_fma_f64 v[22:23], v[34:35], s[10:11], v[22:23]
	v_fma_f64 v[20:21], v[32:33], s[16:17], v[20:21]
	v_add_f64 v[6:7], v[8:9], v[10:11]
	v_add_f64 v[2:3], v[0:1], v[4:5]
	v_fma_f64 v[8:9], v[26:27], s[2:3], v[28:29]
	v_fma_f64 v[10:11], v[26:27], s[8:9], v[16:17]
	;; [unrolled: 1-line block ×8, first 2 shown]
	v_add_f64 v[0:1], v[6:7], v[14:15]
	v_fma_f64 v[6:7], v[36:37], s[18:19], v[8:9]
	v_fma_f64 v[10:11], v[36:37], s[18:19], v[10:11]
	v_fma_f64 v[14:15], v[38:39], s[18:19], v[16:17]
	v_fma_f64 v[18:19], v[38:39], s[18:19], v[18:19]
	v_fma_f64 v[16:17], v[12:13], s[18:19], v[24:25]
	v_fma_f64 v[8:9], v[40:41], s[18:19], v[26:27]
	v_fma_f64 v[4:5], v[40:41], s[18:19], v[22:23]
	v_fma_f64 v[12:13], v[12:13], s[18:19], v[20:21]
	v_lshl_add_u32 v20, v72, 4, v230
	ds_store_b128 v20, v[0:3] offset:20400
	ds_store_b128 v20, v[16:19] offset:20672
	;; [unrolled: 1-line block ×5, first 2 shown]
.LBB0_21:
	s_or_b32 exec_lo, exec_lo, s1
	s_waitcnt lgkmcnt(0)
	s_barrier
	buffer_gl0_inv
	ds_load_b128 v[0:3], v255 offset:1360
	ds_load_b128 v[4:7], v255 offset:2720
	ds_load_b128 v[8:11], v255 offset:4080
	ds_load_b128 v[12:15], v255 offset:5440
	ds_load_b128 v[16:19], v255 offset:6800
	ds_load_b128 v[20:23], v255 offset:8160
	ds_load_b128 v[24:27], v255 offset:9520
	ds_load_b128 v[28:31], v255 offset:10880
	ds_load_b128 v[32:35], v255 offset:12240
	ds_load_b128 v[44:47], v255 offset:13600
	ds_load_b128 v[52:55], v255 offset:14960
	ds_load_b128 v[60:63], v255 offset:16320
	ds_load_b128 v[64:67], v255 offset:17680
	ds_load_b128 v[68:71], v255 offset:19040
	ds_load_b128 v[72:75], v255 offset:20400
	s_clause 0x8
	scratch_load_b128 v[146:149], off, off offset:80
	scratch_load_b128 v[142:145], off, off offset:64
	scratch_load_b128 v[100:103], off, off offset:160
	scratch_load_b128 v[104:107], off, off offset:176
	scratch_load_b128 v[116:119], off, off offset:224
	scratch_load_b128 v[96:99], off, off offset:112
	scratch_load_b128 v[92:95], off, off offset:96
	scratch_load_b128 v[108:111], off, off offset:192
	scratch_load_b128 v[112:115], off, off offset:208
	s_mov_b32 s0, 0x667f3bcd
	s_mov_b32 s1, 0xbfe6a09e
	s_mov_b32 s3, 0x3fe6a09e
	s_mov_b32 s2, s0
	s_mov_b32 s8, 0xcf328d46
	s_mov_b32 s9, 0xbfed906b
	s_waitcnt lgkmcnt(4)
	v_mul_f64 v[138:139], v[130:131], v[54:55]
	v_mul_f64 v[130:131], v[130:131], v[52:53]
	s_waitcnt lgkmcnt(2)
	v_mul_f64 v[136:137], v[126:127], v[66:67]
	v_mul_f64 v[126:127], v[126:127], v[64:65]
	;; [unrolled: 3-line block ×3, first 2 shown]
	s_mov_b32 s19, 0x3fed906b
	s_mov_b32 s18, s8
	;; [unrolled: 1-line block ×6, first 2 shown]
	v_fma_f64 v[52:53], v[128:129], v[52:53], v[138:139]
	v_fma_f64 v[54:55], v[128:129], v[54:55], -v[130:131]
	s_waitcnt vmcnt(8)
	v_mul_f64 v[48:49], v[148:149], v[10:11]
	v_mul_f64 v[50:51], v[148:149], v[8:9]
	scratch_load_b128 v[148:151], off, off offset:240 ; 16-byte Folded Reload
	s_waitcnt vmcnt(7)
	v_mul_f64 v[76:77], v[102:103], v[18:19]
	v_mul_f64 v[78:79], v[102:103], v[16:17]
	s_waitcnt vmcnt(6)
	v_mul_f64 v[80:81], v[106:107], v[22:23]
	v_mul_f64 v[82:83], v[106:107], v[20:21]
	;; [unrolled: 3-line block ×4, first 2 shown]
	v_mul_f64 v[56:57], v[144:145], v[14:15]
	v_mul_f64 v[58:59], v[144:145], v[12:13]
	s_waitcnt vmcnt(2)
	v_mul_f64 v[84:85], v[110:111], v[26:27]
	v_mul_f64 v[86:87], v[110:111], v[24:25]
	s_waitcnt vmcnt(1)
	v_mul_f64 v[88:89], v[114:115], v[30:31]
	v_mul_f64 v[90:91], v[114:115], v[28:29]
	;; [unrolled: 1-line block ×6, first 2 shown]
	v_fma_f64 v[8:9], v[146:147], v[8:9], v[48:49]
	v_fma_f64 v[10:11], v[146:147], v[10:11], -v[50:51]
	v_fma_f64 v[16:17], v[100:101], v[16:17], v[76:77]
	v_fma_f64 v[18:19], v[100:101], v[18:19], -v[78:79]
	;; [unrolled: 2-line block ×11, first 2 shown]
	v_fma_f64 v[60:61], v[132:133], v[74:75], -v[140:141]
	v_fma_f64 v[62:63], v[132:133], v[72:73], v[134:135]
	ds_load_b128 v[0:3], v255
	v_add_f64 v[52:53], v[8:9], -v[52:53]
	v_add_f64 v[54:55], v[10:11], -v[54:55]
	s_waitcnt lgkmcnt(0)
	v_add_f64 v[28:29], v[0:1], -v[28:29]
	v_add_f64 v[30:31], v[2:3], -v[30:31]
	v_add_f64 v[40:41], v[12:13], -v[40:41]
	v_add_f64 v[42:43], v[14:15], -v[42:43]
	v_add_f64 v[32:33], v[36:37], -v[32:33]
	v_add_f64 v[34:35], v[38:39], -v[34:35]
	v_add_f64 v[56:57], v[16:17], -v[56:57]
	v_add_f64 v[58:59], v[18:19], -v[58:59]
	v_add_f64 v[60:61], v[26:27], -v[60:61]
	v_add_f64 v[62:63], v[24:25], -v[62:63]
	v_fma_f64 v[8:9], v[8:9], 2.0, -v[52:53]
	v_fma_f64 v[10:11], v[10:11], 2.0, -v[54:55]
	;; [unrolled: 1-line block ×4, first 2 shown]
	v_add_f64 v[66:67], v[30:31], -v[40:41]
	v_add_f64 v[64:65], v[28:29], v[42:43]
	v_fma_f64 v[12:13], v[12:13], 2.0, -v[40:41]
	v_fma_f64 v[14:15], v[14:15], 2.0, -v[42:43]
	v_add_f64 v[74:75], v[34:35], -v[56:57]
	v_add_f64 v[72:73], v[32:33], v[58:59]
	v_add_f64 v[76:77], v[52:53], v[60:61]
	v_add_f64 v[78:79], v[54:55], -v[62:63]
	v_fma_f64 v[36:37], v[36:37], 2.0, -v[32:33]
	v_fma_f64 v[38:39], v[38:39], 2.0, -v[34:35]
	;; [unrolled: 1-line block ×8, first 2 shown]
	v_add_f64 v[12:13], v[0:1], -v[12:13]
	v_add_f64 v[14:15], v[2:3], -v[14:15]
	v_fma_f64 v[34:35], v[34:35], 2.0, -v[74:75]
	v_fma_f64 v[32:33], v[32:33], 2.0, -v[72:73]
	v_add_f64 v[16:17], v[36:37], -v[16:17]
	v_add_f64 v[18:19], v[38:39], -v[18:19]
	;; [unrolled: 1-line block ×4, first 2 shown]
	v_fma_f64 v[0:1], v[0:1], 2.0, -v[12:13]
	v_fma_f64 v[2:3], v[2:3], 2.0, -v[14:15]
	;; [unrolled: 1-line block ×6, first 2 shown]
	s_waitcnt vmcnt(0)
	v_mul_f64 v[102:103], v[150:151], v[46:47]
	v_mul_f64 v[106:107], v[150:151], v[44:45]
	scratch_load_b128 v[150:153], off, off offset:256 ; 16-byte Folded Reload
	v_fma_f64 v[44:45], v[148:149], v[44:45], v[102:103]
	v_fma_f64 v[46:47], v[148:149], v[46:47], -v[106:107]
	s_delay_alu instid0(VALU_DEP_2) | instskip(NEXT) | instid1(VALU_DEP_2)
	v_add_f64 v[44:45], v[4:5], -v[44:45]
	v_add_f64 v[46:47], v[6:7], -v[46:47]
	s_delay_alu instid0(VALU_DEP_2) | instskip(NEXT) | instid1(VALU_DEP_2)
	v_fma_f64 v[4:5], v[4:5], 2.0, -v[44:45]
	v_fma_f64 v[6:7], v[6:7], 2.0, -v[46:47]
	s_waitcnt vmcnt(0)
	v_mul_f64 v[110:111], v[152:153], v[70:71]
	v_mul_f64 v[114:115], v[152:153], v[68:69]
	s_delay_alu instid0(VALU_DEP_2) | instskip(NEXT) | instid1(VALU_DEP_2)
	v_fma_f64 v[48:49], v[150:151], v[68:69], v[110:111]
	v_fma_f64 v[50:51], v[150:151], v[70:71], -v[114:115]
	s_delay_alu instid0(VALU_DEP_2) | instskip(NEXT) | instid1(VALU_DEP_2)
	v_add_f64 v[48:49], v[20:21], -v[48:49]
	v_add_f64 v[50:51], v[22:23], -v[50:51]
	s_delay_alu instid0(VALU_DEP_2) | instskip(NEXT) | instid1(VALU_DEP_2)
	v_add_f64 v[70:71], v[46:47], -v[48:49]
	v_add_f64 v[68:69], v[44:45], v[50:51]
	v_fma_f64 v[20:21], v[20:21], 2.0, -v[48:49]
	v_fma_f64 v[22:23], v[22:23], 2.0, -v[50:51]
	s_delay_alu instid0(VALU_DEP_4) | instskip(NEXT) | instid1(VALU_DEP_4)
	v_fma_f64 v[42:43], v[46:47], 2.0, -v[70:71]
	v_fma_f64 v[40:41], v[44:45], 2.0, -v[68:69]
	;; [unrolled: 1-line block ×4, first 2 shown]
	v_add_f64 v[20:21], v[4:5], -v[20:21]
	v_add_f64 v[22:23], v[6:7], -v[22:23]
	v_fma_f64 v[48:49], v[68:69], s[2:3], v[64:65]
	v_fma_f64 v[50:51], v[70:71], s[2:3], v[66:67]
	v_fma_f64 v[52:53], v[76:77], s[2:3], v[72:73]
	v_fma_f64 v[54:55], v[78:79], s[2:3], v[74:75]
	v_fma_f64 v[58:59], v[42:43], s[0:1], v[30:31]
	v_fma_f64 v[56:57], v[40:41], s[0:1], v[28:29]
	v_fma_f64 v[60:61], v[44:45], s[0:1], v[32:33]
	v_fma_f64 v[62:63], v[46:47], s[0:1], v[34:35]
	v_fma_f64 v[4:5], v[4:5], 2.0, -v[20:21]
	v_fma_f64 v[6:7], v[6:7], 2.0, -v[22:23]
	v_add_f64 v[80:81], v[12:13], v[22:23]
	v_add_f64 v[82:83], v[14:15], -v[20:21]
	v_add_f64 v[20:21], v[16:17], v[26:27]
	v_add_f64 v[22:23], v[18:19], -v[24:25]
	v_fma_f64 v[48:49], v[70:71], s[2:3], v[48:49]
	v_fma_f64 v[50:51], v[68:69], s[0:1], v[50:51]
	;; [unrolled: 1-line block ×8, first 2 shown]
	v_add_f64 v[40:41], v[0:1], -v[4:5]
	v_add_f64 v[42:43], v[2:3], -v[6:7]
	v_fma_f64 v[44:45], v[12:13], 2.0, -v[80:81]
	v_fma_f64 v[46:47], v[14:15], 2.0, -v[82:83]
	;; [unrolled: 1-line block ×8, first 2 shown]
	v_add_f64 v[64:65], v[36:37], -v[8:9]
	v_add_f64 v[8:9], v[38:39], -v[10:11]
	v_fma_f64 v[4:5], v[20:21], s[2:3], v[80:81]
	v_fma_f64 v[6:7], v[22:23], s[2:3], v[82:83]
	;; [unrolled: 1-line block ×3, first 2 shown]
	v_fma_f64 v[68:69], v[30:31], 2.0, -v[58:59]
	v_fma_f64 v[66:67], v[28:29], 2.0, -v[56:57]
	;; [unrolled: 1-line block ×4, first 2 shown]
	v_fma_f64 v[32:33], v[54:55], s[18:19], v[50:51]
	v_fma_f64 v[84:85], v[24:25], s[10:11], v[56:57]
	;; [unrolled: 1-line block ×3, first 2 shown]
	v_fma_f64 v[70:71], v[0:1], 2.0, -v[40:41]
	v_fma_f64 v[34:35], v[14:15], s[0:1], v[44:45]
	v_fma_f64 v[74:75], v[12:13], s[0:1], v[46:47]
	v_fma_f64 v[72:73], v[2:3], 2.0, -v[42:43]
	v_fma_f64 v[76:77], v[18:19], s[16:17], v[60:61]
	v_fma_f64 v[78:79], v[16:17], s[16:17], v[62:63]
	v_fma_f64 v[36:37], v[36:37], 2.0, -v[64:65]
	v_fma_f64 v[38:39], v[38:39], 2.0, -v[8:9]
	v_fma_f64 v[0:1], v[22:23], s[2:3], v[4:5]
	v_fma_f64 v[2:3], v[20:21], s[0:1], v[6:7]
	;; [unrolled: 1-line block ×3, first 2 shown]
	v_add_f64 v[8:9], v[40:41], v[8:9]
	v_add_f64 v[10:11], v[42:43], -v[64:65]
	v_fma_f64 v[88:89], v[30:31], s[8:9], v[66:67]
	v_fma_f64 v[90:91], v[28:29], s[8:9], v[68:69]
	;; [unrolled: 1-line block ×9, first 2 shown]
	v_add_f64 v[24:25], v[70:71], -v[36:37]
	v_add_f64 v[26:27], v[72:73], -v[38:39]
	v_fma_f64 v[32:33], v[80:81], 2.0, -v[0:1]
	v_fma_f64 v[34:35], v[82:83], 2.0, -v[2:3]
	;; [unrolled: 1-line block ×5, first 2 shown]
	v_fma_f64 v[28:29], v[28:29], s[10:11], v[88:89]
	v_fma_f64 v[30:31], v[30:31], s[16:17], v[90:91]
	v_fma_f64 v[38:39], v[50:51], 2.0, -v[6:7]
	v_fma_f64 v[52:53], v[56:57], 2.0, -v[20:21]
	;; [unrolled: 1-line block ×11, first 2 shown]
	ds_store_b128 v212, v[0:3] offset:19040
	ds_store_b128 v212, v[4:7] offset:20400
	;; [unrolled: 1-line block ×14, first 2 shown]
	ds_store_b128 v212, v[56:59]
	ds_store_b128 v212, v[60:63] offset:1360
	s_waitcnt lgkmcnt(0)
	s_barrier
	buffer_gl0_inv
	s_and_b32 exec_lo, exec_lo, vcc_lo
	s_cbranch_execz .LBB0_23
; %bb.22:
	global_load_b128 v[0:3], v223, s[12:13]
	ds_load_b128 v[4:7], v212
	ds_load_b128 v[8:11], v212 offset:1280
	s_mov_b32 s0, 0x18181818
	s_mov_b32 s1, 0x3f481818
	s_mul_i32 s2, s5, 0x500
	s_mul_i32 s3, s4, 0x500
	s_waitcnt vmcnt(0) lgkmcnt(1)
	v_mul_f64 v[12:13], v[6:7], v[2:3]
	v_mul_f64 v[2:3], v[4:5], v[2:3]
	s_delay_alu instid0(VALU_DEP_2) | instskip(NEXT) | instid1(VALU_DEP_2)
	v_fma_f64 v[4:5], v[4:5], v[0:1], v[12:13]
	v_fma_f64 v[0:1], v[0:1], v[6:7], -v[2:3]
	v_mad_u64_u32 v[6:7], null, s6, v229, 0
	v_mad_u64_u32 v[12:13], null, s4, v224, 0
	s_mul_hi_u32 s6, s4, 0x500
	s_delay_alu instid0(SALU_CYCLE_1) | instskip(SKIP_1) | instid1(VALU_DEP_1)
	s_add_i32 s2, s6, s2
	v_add_co_u32 v20, s6, s12, v223
	v_add_co_ci_u32_e64 v21, null, s13, 0, s6
	v_mul_f64 v[2:3], v[4:5], s[0:1]
	v_mul_f64 v[4:5], v[0:1], s[0:1]
	v_dual_mov_b32 v0, v7 :: v_dual_mov_b32 v1, v13
	s_delay_alu instid0(VALU_DEP_1) | instskip(NEXT) | instid1(VALU_DEP_1)
	v_mad_u64_u32 v[13:14], null, s7, v229, v[0:1]
	v_mov_b32_e32 v7, v13
	v_mad_u64_u32 v[14:15], null, s5, v224, v[1:2]
	s_delay_alu instid0(VALU_DEP_2) | instskip(NEXT) | instid1(VALU_DEP_1)
	v_lshlrev_b64 v[0:1], 4, v[6:7]
	v_add_co_u32 v0, vcc_lo, s14, v0
	s_delay_alu instid0(VALU_DEP_3) | instskip(NEXT) | instid1(VALU_DEP_3)
	v_mov_b32_e32 v13, v14
	v_add_co_ci_u32_e32 v1, vcc_lo, s15, v1, vcc_lo
	s_delay_alu instid0(VALU_DEP_2) | instskip(NEXT) | instid1(VALU_DEP_1)
	v_lshlrev_b64 v[6:7], 4, v[12:13]
	v_add_co_u32 v6, vcc_lo, v0, v6
	s_delay_alu instid0(VALU_DEP_2) | instskip(NEXT) | instid1(VALU_DEP_2)
	v_add_co_ci_u32_e32 v7, vcc_lo, v1, v7, vcc_lo
	v_add_co_u32 v14, vcc_lo, v6, s3
	global_store_b128 v[6:7], v[2:5], off
	global_load_b128 v[2:5], v223, s[12:13] offset:1280
	v_add_co_ci_u32_e32 v15, vcc_lo, s2, v7, vcc_lo
	s_waitcnt vmcnt(0) lgkmcnt(0)
	v_mul_f64 v[12:13], v[10:11], v[4:5]
	v_mul_f64 v[4:5], v[8:9], v[4:5]
	s_delay_alu instid0(VALU_DEP_2) | instskip(NEXT) | instid1(VALU_DEP_2)
	v_fma_f64 v[8:9], v[8:9], v[2:3], v[12:13]
	v_fma_f64 v[4:5], v[2:3], v[10:11], -v[4:5]
	s_delay_alu instid0(VALU_DEP_2) | instskip(NEXT) | instid1(VALU_DEP_2)
	v_mul_f64 v[2:3], v[8:9], s[0:1]
	v_mul_f64 v[4:5], v[4:5], s[0:1]
	global_store_b128 v[14:15], v[2:5], off
	global_load_b128 v[2:5], v223, s[12:13] offset:2560
	ds_load_b128 v[6:9], v212 offset:2560
	ds_load_b128 v[10:13], v212 offset:3840
	s_waitcnt vmcnt(0) lgkmcnt(1)
	v_mul_f64 v[16:17], v[8:9], v[4:5]
	v_mul_f64 v[4:5], v[6:7], v[4:5]
	s_delay_alu instid0(VALU_DEP_2) | instskip(NEXT) | instid1(VALU_DEP_2)
	v_fma_f64 v[6:7], v[6:7], v[2:3], v[16:17]
	v_fma_f64 v[4:5], v[2:3], v[8:9], -v[4:5]
	s_delay_alu instid0(VALU_DEP_2) | instskip(NEXT) | instid1(VALU_DEP_2)
	v_mul_f64 v[2:3], v[6:7], s[0:1]
	v_mul_f64 v[4:5], v[4:5], s[0:1]
	v_add_co_u32 v6, vcc_lo, v14, s3
	v_add_co_ci_u32_e32 v7, vcc_lo, s2, v15, vcc_lo
	s_delay_alu instid0(VALU_DEP_2) | instskip(NEXT) | instid1(VALU_DEP_2)
	v_add_co_u32 v14, vcc_lo, v6, s3
	v_add_co_ci_u32_e32 v15, vcc_lo, s2, v7, vcc_lo
	v_add_co_u32 v16, vcc_lo, 0x1000, v20
	v_add_co_ci_u32_e32 v17, vcc_lo, 0, v21, vcc_lo
	global_store_b128 v[6:7], v[2:5], off
	global_load_b128 v[2:5], v223, s[12:13] offset:3840
	s_waitcnt vmcnt(0) lgkmcnt(0)
	v_mul_f64 v[8:9], v[12:13], v[4:5]
	v_mul_f64 v[4:5], v[10:11], v[4:5]
	s_delay_alu instid0(VALU_DEP_2) | instskip(NEXT) | instid1(VALU_DEP_2)
	v_fma_f64 v[8:9], v[10:11], v[2:3], v[8:9]
	v_fma_f64 v[4:5], v[2:3], v[12:13], -v[4:5]
	s_delay_alu instid0(VALU_DEP_2) | instskip(NEXT) | instid1(VALU_DEP_2)
	v_mul_f64 v[2:3], v[8:9], s[0:1]
	v_mul_f64 v[4:5], v[4:5], s[0:1]
	global_store_b128 v[14:15], v[2:5], off
	global_load_b128 v[2:5], v[16:17], off offset:1024
	ds_load_b128 v[6:9], v212 offset:5120
	ds_load_b128 v[10:13], v212 offset:6400
	s_waitcnt vmcnt(0) lgkmcnt(1)
	v_mul_f64 v[18:19], v[8:9], v[4:5]
	v_mul_f64 v[4:5], v[6:7], v[4:5]
	s_delay_alu instid0(VALU_DEP_2) | instskip(NEXT) | instid1(VALU_DEP_2)
	v_fma_f64 v[6:7], v[6:7], v[2:3], v[18:19]
	v_fma_f64 v[4:5], v[2:3], v[8:9], -v[4:5]
	s_delay_alu instid0(VALU_DEP_2) | instskip(NEXT) | instid1(VALU_DEP_2)
	v_mul_f64 v[2:3], v[6:7], s[0:1]
	v_mul_f64 v[4:5], v[4:5], s[0:1]
	v_add_co_u32 v6, vcc_lo, v14, s3
	v_add_co_ci_u32_e32 v7, vcc_lo, s2, v15, vcc_lo
	s_delay_alu instid0(VALU_DEP_2) | instskip(NEXT) | instid1(VALU_DEP_2)
	v_add_co_u32 v14, vcc_lo, v6, s3
	v_add_co_ci_u32_e32 v15, vcc_lo, s2, v7, vcc_lo
	global_store_b128 v[6:7], v[2:5], off
	global_load_b128 v[2:5], v[16:17], off offset:2304
	s_waitcnt vmcnt(0) lgkmcnt(0)
	v_mul_f64 v[8:9], v[12:13], v[4:5]
	v_mul_f64 v[4:5], v[10:11], v[4:5]
	s_delay_alu instid0(VALU_DEP_2) | instskip(NEXT) | instid1(VALU_DEP_2)
	v_fma_f64 v[8:9], v[10:11], v[2:3], v[8:9]
	v_fma_f64 v[4:5], v[2:3], v[12:13], -v[4:5]
	s_delay_alu instid0(VALU_DEP_2) | instskip(NEXT) | instid1(VALU_DEP_2)
	v_mul_f64 v[2:3], v[8:9], s[0:1]
	v_mul_f64 v[4:5], v[4:5], s[0:1]
	global_store_b128 v[14:15], v[2:5], off
	global_load_b128 v[2:5], v[16:17], off offset:3584
	ds_load_b128 v[6:9], v212 offset:7680
	ds_load_b128 v[10:13], v212 offset:8960
	scratch_load_b32 v22, off, off offset:276 ; 4-byte Folded Reload
	s_waitcnt vmcnt(1) lgkmcnt(1)
	v_mul_f64 v[16:17], v[8:9], v[4:5]
	v_mul_f64 v[4:5], v[6:7], v[4:5]
	s_delay_alu instid0(VALU_DEP_2) | instskip(NEXT) | instid1(VALU_DEP_2)
	v_fma_f64 v[6:7], v[6:7], v[2:3], v[16:17]
	v_fma_f64 v[4:5], v[2:3], v[8:9], -v[4:5]
	s_delay_alu instid0(VALU_DEP_2) | instskip(NEXT) | instid1(VALU_DEP_2)
	v_mul_f64 v[2:3], v[6:7], s[0:1]
	v_mul_f64 v[4:5], v[4:5], s[0:1]
	v_add_co_u32 v6, vcc_lo, v14, s3
	v_add_co_ci_u32_e32 v7, vcc_lo, s2, v15, vcc_lo
	v_add_co_u32 v14, vcc_lo, 0x2000, v20
	v_add_co_ci_u32_e32 v15, vcc_lo, 0, v21, vcc_lo
	s_delay_alu instid0(VALU_DEP_4) | instskip(NEXT) | instid1(VALU_DEP_4)
	v_add_co_u32 v16, vcc_lo, v6, s3
	v_add_co_ci_u32_e32 v17, vcc_lo, s2, v7, vcc_lo
	global_store_b128 v[6:7], v[2:5], off
	global_load_b128 v[2:5], v[14:15], off offset:768
	s_waitcnt vmcnt(1)
	v_lshlrev_b32_e32 v6, 4, v22
	s_waitcnt vmcnt(0) lgkmcnt(0)
	v_mul_f64 v[8:9], v[12:13], v[4:5]
	v_mul_f64 v[4:5], v[10:11], v[4:5]
	s_delay_alu instid0(VALU_DEP_2) | instskip(NEXT) | instid1(VALU_DEP_2)
	v_fma_f64 v[8:9], v[10:11], v[2:3], v[8:9]
	v_fma_f64 v[4:5], v[2:3], v[12:13], -v[4:5]
	s_delay_alu instid0(VALU_DEP_2) | instskip(NEXT) | instid1(VALU_DEP_2)
	v_mul_f64 v[2:3], v[8:9], s[0:1]
	v_mul_f64 v[4:5], v[4:5], s[0:1]
	global_store_b128 v[16:17], v[2:5], off
	global_load_b128 v[2:5], v6, s[12:13]
	ds_load_b128 v[6:9], v212 offset:10240
	ds_load_b128 v[10:13], v212 offset:11520
	s_waitcnt vmcnt(0) lgkmcnt(1)
	v_mul_f64 v[18:19], v[8:9], v[4:5]
	v_mul_f64 v[4:5], v[6:7], v[4:5]
	s_delay_alu instid0(VALU_DEP_2) | instskip(NEXT) | instid1(VALU_DEP_2)
	v_fma_f64 v[6:7], v[6:7], v[2:3], v[18:19]
	v_fma_f64 v[4:5], v[2:3], v[8:9], -v[4:5]
	v_mad_u64_u32 v[8:9], null, s4, v22, 0
	s_delay_alu instid0(VALU_DEP_3) | instskip(NEXT) | instid1(VALU_DEP_2)
	v_mul_f64 v[2:3], v[6:7], s[0:1]
	v_mov_b32_e32 v6, v9
	s_delay_alu instid0(VALU_DEP_4) | instskip(NEXT) | instid1(VALU_DEP_2)
	v_mul_f64 v[4:5], v[4:5], s[0:1]
	v_mad_u64_u32 v[18:19], null, s5, v22, v[6:7]
	s_delay_alu instid0(VALU_DEP_1) | instskip(NEXT) | instid1(VALU_DEP_1)
	v_mov_b32_e32 v9, v18
	v_lshlrev_b64 v[6:7], 4, v[8:9]
	s_delay_alu instid0(VALU_DEP_1) | instskip(NEXT) | instid1(VALU_DEP_2)
	v_add_co_u32 v6, vcc_lo, v0, v6
	v_add_co_ci_u32_e32 v7, vcc_lo, v1, v7, vcc_lo
	global_store_b128 v[6:7], v[2:5], off
	global_load_b128 v[2:5], v[14:15], off offset:3328
	v_mad_u64_u32 v[14:15], null, 0xa00, s4, v[16:17]
	v_add_co_u32 v16, vcc_lo, 0x3000, v20
	v_add_co_ci_u32_e32 v17, vcc_lo, 0, v21, vcc_lo
	s_waitcnt vmcnt(0) lgkmcnt(0)
	v_mul_f64 v[6:7], v[12:13], v[4:5]
	v_mul_f64 v[4:5], v[10:11], v[4:5]
	s_delay_alu instid0(VALU_DEP_2) | instskip(NEXT) | instid1(VALU_DEP_2)
	v_fma_f64 v[6:7], v[10:11], v[2:3], v[6:7]
	v_fma_f64 v[4:5], v[2:3], v[12:13], -v[4:5]
	s_delay_alu instid0(VALU_DEP_2) | instskip(SKIP_1) | instid1(VALU_DEP_3)
	v_mul_f64 v[2:3], v[6:7], s[0:1]
	v_mov_b32_e32 v6, v15
	v_mul_f64 v[4:5], v[4:5], s[0:1]
	s_delay_alu instid0(VALU_DEP_2) | instskip(NEXT) | instid1(VALU_DEP_1)
	v_mad_u64_u32 v[7:8], null, 0xa00, s5, v[6:7]
	v_mov_b32_e32 v15, v7
	global_store_b128 v[14:15], v[2:5], off
	global_load_b128 v[2:5], v[16:17], off offset:512
	ds_load_b128 v[6:9], v212 offset:12800
	ds_load_b128 v[10:13], v212 offset:14080
	s_waitcnt vmcnt(0) lgkmcnt(1)
	v_mul_f64 v[18:19], v[8:9], v[4:5]
	v_mul_f64 v[4:5], v[6:7], v[4:5]
	s_delay_alu instid0(VALU_DEP_2) | instskip(NEXT) | instid1(VALU_DEP_2)
	v_fma_f64 v[6:7], v[6:7], v[2:3], v[18:19]
	v_fma_f64 v[4:5], v[2:3], v[8:9], -v[4:5]
	s_delay_alu instid0(VALU_DEP_2) | instskip(NEXT) | instid1(VALU_DEP_2)
	v_mul_f64 v[2:3], v[6:7], s[0:1]
	v_mul_f64 v[4:5], v[4:5], s[0:1]
	v_add_co_u32 v6, vcc_lo, v14, s3
	v_add_co_ci_u32_e32 v7, vcc_lo, s2, v15, vcc_lo
	s_delay_alu instid0(VALU_DEP_2) | instskip(NEXT) | instid1(VALU_DEP_2)
	v_add_co_u32 v14, vcc_lo, v6, s3
	v_add_co_ci_u32_e32 v15, vcc_lo, s2, v7, vcc_lo
	global_store_b128 v[6:7], v[2:5], off
	global_load_b128 v[2:5], v[16:17], off offset:1792
	s_waitcnt vmcnt(0) lgkmcnt(0)
	v_mul_f64 v[8:9], v[12:13], v[4:5]
	v_mul_f64 v[4:5], v[10:11], v[4:5]
	s_delay_alu instid0(VALU_DEP_2) | instskip(NEXT) | instid1(VALU_DEP_2)
	v_fma_f64 v[8:9], v[10:11], v[2:3], v[8:9]
	v_fma_f64 v[4:5], v[2:3], v[12:13], -v[4:5]
	s_delay_alu instid0(VALU_DEP_2) | instskip(NEXT) | instid1(VALU_DEP_2)
	v_mul_f64 v[2:3], v[8:9], s[0:1]
	v_mul_f64 v[4:5], v[4:5], s[0:1]
	global_store_b128 v[14:15], v[2:5], off
	global_load_b128 v[2:5], v[16:17], off offset:3072
	ds_load_b128 v[6:9], v212 offset:15360
	ds_load_b128 v[10:13], v212 offset:16640
	s_waitcnt vmcnt(0) lgkmcnt(1)
	v_mul_f64 v[16:17], v[8:9], v[4:5]
	v_mul_f64 v[4:5], v[6:7], v[4:5]
	s_delay_alu instid0(VALU_DEP_2) | instskip(NEXT) | instid1(VALU_DEP_2)
	v_fma_f64 v[6:7], v[6:7], v[2:3], v[16:17]
	v_fma_f64 v[4:5], v[2:3], v[8:9], -v[4:5]
	s_delay_alu instid0(VALU_DEP_2) | instskip(NEXT) | instid1(VALU_DEP_2)
	v_mul_f64 v[2:3], v[6:7], s[0:1]
	v_mul_f64 v[4:5], v[4:5], s[0:1]
	v_add_co_u32 v6, vcc_lo, v14, s3
	v_add_co_ci_u32_e32 v7, vcc_lo, s2, v15, vcc_lo
	v_add_co_u32 v14, vcc_lo, 0x4000, v20
	v_add_co_ci_u32_e32 v15, vcc_lo, 0, v21, vcc_lo
	s_delay_alu instid0(VALU_DEP_4) | instskip(NEXT) | instid1(VALU_DEP_4)
	v_add_co_u32 v16, vcc_lo, v6, s3
	v_add_co_ci_u32_e32 v17, vcc_lo, s2, v7, vcc_lo
	global_store_b128 v[6:7], v[2:5], off
	global_load_b128 v[2:5], v[14:15], off offset:256
	s_waitcnt vmcnt(0) lgkmcnt(0)
	v_mul_f64 v[8:9], v[12:13], v[4:5]
	v_mul_f64 v[4:5], v[10:11], v[4:5]
	s_delay_alu instid0(VALU_DEP_2) | instskip(NEXT) | instid1(VALU_DEP_2)
	v_fma_f64 v[8:9], v[10:11], v[2:3], v[8:9]
	v_fma_f64 v[4:5], v[2:3], v[12:13], -v[4:5]
	s_delay_alu instid0(VALU_DEP_2) | instskip(NEXT) | instid1(VALU_DEP_2)
	v_mul_f64 v[2:3], v[8:9], s[0:1]
	v_mul_f64 v[4:5], v[4:5], s[0:1]
	global_store_b128 v[16:17], v[2:5], off
	global_load_b128 v[2:5], v[14:15], off offset:1536
	ds_load_b128 v[6:9], v212 offset:17920
	ds_load_b128 v[10:13], v212 offset:19200
	s_waitcnt vmcnt(0) lgkmcnt(1)
	v_mul_f64 v[18:19], v[8:9], v[4:5]
	v_mul_f64 v[4:5], v[6:7], v[4:5]
	s_delay_alu instid0(VALU_DEP_2) | instskip(NEXT) | instid1(VALU_DEP_2)
	v_fma_f64 v[6:7], v[6:7], v[2:3], v[18:19]
	v_fma_f64 v[4:5], v[2:3], v[8:9], -v[4:5]
	s_delay_alu instid0(VALU_DEP_2) | instskip(NEXT) | instid1(VALU_DEP_2)
	v_mul_f64 v[2:3], v[6:7], s[0:1]
	v_mul_f64 v[4:5], v[4:5], s[0:1]
	v_add_co_u32 v6, vcc_lo, v16, s3
	v_add_co_ci_u32_e32 v7, vcc_lo, s2, v17, vcc_lo
	global_store_b128 v[6:7], v[2:5], off
	global_load_b128 v[2:5], v[14:15], off offset:2816
	v_add_co_u32 v6, vcc_lo, v6, s3
	v_add_co_ci_u32_e32 v7, vcc_lo, s2, v7, vcc_lo
	s_waitcnt vmcnt(0) lgkmcnt(0)
	v_mul_f64 v[8:9], v[12:13], v[4:5]
	v_mul_f64 v[4:5], v[10:11], v[4:5]
	s_delay_alu instid0(VALU_DEP_2) | instskip(NEXT) | instid1(VALU_DEP_2)
	v_fma_f64 v[8:9], v[10:11], v[2:3], v[8:9]
	v_fma_f64 v[4:5], v[2:3], v[12:13], -v[4:5]
	scratch_load_b32 v12, off, off offset:272 ; 4-byte Folded Reload
	v_mul_f64 v[2:3], v[8:9], s[0:1]
	v_mul_f64 v[4:5], v[4:5], s[0:1]
	global_store_b128 v[6:7], v[2:5], off
	s_waitcnt vmcnt(0)
	v_lshlrev_b32_e32 v8, 4, v12
	global_load_b128 v[2:5], v8, s[12:13]
	ds_load_b128 v[6:9], v212 offset:20480
	s_waitcnt vmcnt(0) lgkmcnt(0)
	v_mul_f64 v[10:11], v[8:9], v[4:5]
	v_mul_f64 v[4:5], v[6:7], v[4:5]
	s_delay_alu instid0(VALU_DEP_2) | instskip(NEXT) | instid1(VALU_DEP_2)
	v_fma_f64 v[6:7], v[6:7], v[2:3], v[10:11]
	v_fma_f64 v[4:5], v[2:3], v[8:9], -v[4:5]
	v_mad_u64_u32 v[8:9], null, s4, v12, 0
	s_delay_alu instid0(VALU_DEP_3) | instskip(NEXT) | instid1(VALU_DEP_3)
	v_mul_f64 v[2:3], v[6:7], s[0:1]
	v_mul_f64 v[4:5], v[4:5], s[0:1]
	s_delay_alu instid0(VALU_DEP_3) | instskip(NEXT) | instid1(VALU_DEP_1)
	v_mov_b32_e32 v6, v9
	v_mad_u64_u32 v[9:10], null, s5, v12, v[6:7]
	s_delay_alu instid0(VALU_DEP_1) | instskip(NEXT) | instid1(VALU_DEP_1)
	v_lshlrev_b64 v[6:7], 4, v[8:9]
	v_add_co_u32 v0, vcc_lo, v0, v6
	s_delay_alu instid0(VALU_DEP_2)
	v_add_co_ci_u32_e32 v1, vcc_lo, v1, v7, vcc_lo
	global_store_b128 v[0:1], v[2:5], off
.LBB0_23:
	s_nop 0
	s_sendmsg sendmsg(MSG_DEALLOC_VGPRS)
	s_endpgm
	.section	.rodata,"a",@progbits
	.p2align	6, 0x0
	.amdhsa_kernel bluestein_single_back_len1360_dim1_dp_op_CI_CI
		.amdhsa_group_segment_fixed_size 65280
		.amdhsa_private_segment_fixed_size 460
		.amdhsa_kernarg_size 104
		.amdhsa_user_sgpr_count 15
		.amdhsa_user_sgpr_dispatch_ptr 0
		.amdhsa_user_sgpr_queue_ptr 0
		.amdhsa_user_sgpr_kernarg_segment_ptr 1
		.amdhsa_user_sgpr_dispatch_id 0
		.amdhsa_user_sgpr_private_segment_size 0
		.amdhsa_wavefront_size32 1
		.amdhsa_uses_dynamic_stack 0
		.amdhsa_enable_private_segment 1
		.amdhsa_system_sgpr_workgroup_id_x 1
		.amdhsa_system_sgpr_workgroup_id_y 0
		.amdhsa_system_sgpr_workgroup_id_z 0
		.amdhsa_system_sgpr_workgroup_info 0
		.amdhsa_system_vgpr_workitem_id 0
		.amdhsa_next_free_vgpr 256
		.amdhsa_next_free_sgpr 58
		.amdhsa_reserve_vcc 1
		.amdhsa_float_round_mode_32 0
		.amdhsa_float_round_mode_16_64 0
		.amdhsa_float_denorm_mode_32 3
		.amdhsa_float_denorm_mode_16_64 3
		.amdhsa_dx10_clamp 1
		.amdhsa_ieee_mode 1
		.amdhsa_fp16_overflow 0
		.amdhsa_workgroup_processor_mode 1
		.amdhsa_memory_ordered 1
		.amdhsa_forward_progress 0
		.amdhsa_shared_vgpr_count 0
		.amdhsa_exception_fp_ieee_invalid_op 0
		.amdhsa_exception_fp_denorm_src 0
		.amdhsa_exception_fp_ieee_div_zero 0
		.amdhsa_exception_fp_ieee_overflow 0
		.amdhsa_exception_fp_ieee_underflow 0
		.amdhsa_exception_fp_ieee_inexact 0
		.amdhsa_exception_int_div_zero 0
	.end_amdhsa_kernel
	.text
.Lfunc_end0:
	.size	bluestein_single_back_len1360_dim1_dp_op_CI_CI, .Lfunc_end0-bluestein_single_back_len1360_dim1_dp_op_CI_CI
                                        ; -- End function
	.section	.AMDGPU.csdata,"",@progbits
; Kernel info:
; codeLenInByte = 31504
; NumSgprs: 60
; NumVgprs: 256
; ScratchSize: 460
; MemoryBound: 0
; FloatMode: 240
; IeeeMode: 1
; LDSByteSize: 65280 bytes/workgroup (compile time only)
; SGPRBlocks: 7
; VGPRBlocks: 31
; NumSGPRsForWavesPerEU: 60
; NumVGPRsForWavesPerEU: 256
; Occupancy: 4
; WaveLimiterHint : 1
; COMPUTE_PGM_RSRC2:SCRATCH_EN: 1
; COMPUTE_PGM_RSRC2:USER_SGPR: 15
; COMPUTE_PGM_RSRC2:TRAP_HANDLER: 0
; COMPUTE_PGM_RSRC2:TGID_X_EN: 1
; COMPUTE_PGM_RSRC2:TGID_Y_EN: 0
; COMPUTE_PGM_RSRC2:TGID_Z_EN: 0
; COMPUTE_PGM_RSRC2:TIDIG_COMP_CNT: 0
	.text
	.p2alignl 7, 3214868480
	.fill 96, 4, 3214868480
	.type	__hip_cuid_4014f8ad0d6af505,@object ; @__hip_cuid_4014f8ad0d6af505
	.section	.bss,"aw",@nobits
	.globl	__hip_cuid_4014f8ad0d6af505
__hip_cuid_4014f8ad0d6af505:
	.byte	0                               ; 0x0
	.size	__hip_cuid_4014f8ad0d6af505, 1

	.ident	"AMD clang version 19.0.0git (https://github.com/RadeonOpenCompute/llvm-project roc-6.4.0 25133 c7fe45cf4b819c5991fe208aaa96edf142730f1d)"
	.section	".note.GNU-stack","",@progbits
	.addrsig
	.addrsig_sym __hip_cuid_4014f8ad0d6af505
	.amdgpu_metadata
---
amdhsa.kernels:
  - .args:
      - .actual_access:  read_only
        .address_space:  global
        .offset:         0
        .size:           8
        .value_kind:     global_buffer
      - .actual_access:  read_only
        .address_space:  global
        .offset:         8
        .size:           8
        .value_kind:     global_buffer
      - .actual_access:  read_only
        .address_space:  global
        .offset:         16
        .size:           8
        .value_kind:     global_buffer
      - .actual_access:  read_only
        .address_space:  global
        .offset:         24
        .size:           8
        .value_kind:     global_buffer
      - .actual_access:  read_only
        .address_space:  global
        .offset:         32
        .size:           8
        .value_kind:     global_buffer
      - .offset:         40
        .size:           8
        .value_kind:     by_value
      - .address_space:  global
        .offset:         48
        .size:           8
        .value_kind:     global_buffer
      - .address_space:  global
        .offset:         56
        .size:           8
        .value_kind:     global_buffer
      - .address_space:  global
        .offset:         64
        .size:           8
        .value_kind:     global_buffer
      - .address_space:  global
        .offset:         72
        .size:           8
        .value_kind:     global_buffer
      - .offset:         80
        .size:           4
        .value_kind:     by_value
      - .address_space:  global
        .offset:         88
        .size:           8
        .value_kind:     global_buffer
      - .address_space:  global
        .offset:         96
        .size:           8
        .value_kind:     global_buffer
    .group_segment_fixed_size: 65280
    .kernarg_segment_align: 8
    .kernarg_segment_size: 104
    .language:       OpenCL C
    .language_version:
      - 2
      - 0
    .max_flat_workgroup_size: 255
    .name:           bluestein_single_back_len1360_dim1_dp_op_CI_CI
    .private_segment_fixed_size: 460
    .sgpr_count:     60
    .sgpr_spill_count: 0
    .symbol:         bluestein_single_back_len1360_dim1_dp_op_CI_CI.kd
    .uniform_work_group_size: 1
    .uses_dynamic_stack: false
    .vgpr_count:     256
    .vgpr_spill_count: 124
    .wavefront_size: 32
    .workgroup_processor_mode: 1
amdhsa.target:   amdgcn-amd-amdhsa--gfx1100
amdhsa.version:
  - 1
  - 2
...

	.end_amdgpu_metadata
